;; amdgpu-corpus repo=ROCm/rocFFT kind=compiled arch=gfx1201 opt=O3
	.text
	.amdgcn_target "amdgcn-amd-amdhsa--gfx1201"
	.amdhsa_code_object_version 6
	.protected	fft_rtc_fwd_len1350_factors_5_10_3_3_3_wgs_135_tpt_135_halfLds_sp_op_CI_CI_unitstride_sbrr_R2C_dirReg ; -- Begin function fft_rtc_fwd_len1350_factors_5_10_3_3_3_wgs_135_tpt_135_halfLds_sp_op_CI_CI_unitstride_sbrr_R2C_dirReg
	.globl	fft_rtc_fwd_len1350_factors_5_10_3_3_3_wgs_135_tpt_135_halfLds_sp_op_CI_CI_unitstride_sbrr_R2C_dirReg
	.p2align	8
	.type	fft_rtc_fwd_len1350_factors_5_10_3_3_3_wgs_135_tpt_135_halfLds_sp_op_CI_CI_unitstride_sbrr_R2C_dirReg,@function
fft_rtc_fwd_len1350_factors_5_10_3_3_3_wgs_135_tpt_135_halfLds_sp_op_CI_CI_unitstride_sbrr_R2C_dirReg: ; @fft_rtc_fwd_len1350_factors_5_10_3_3_3_wgs_135_tpt_135_halfLds_sp_op_CI_CI_unitstride_sbrr_R2C_dirReg
; %bb.0:
	s_clause 0x2
	s_load_b128 s[8:11], s[0:1], 0x0
	s_load_b128 s[4:7], s[0:1], 0x58
	;; [unrolled: 1-line block ×3, first 2 shown]
	v_mul_u32_u24_e32 v1, 0x1e6, v0
	v_mov_b32_e32 v3, 0
	s_delay_alu instid0(VALU_DEP_2) | instskip(NEXT) | instid1(VALU_DEP_1)
	v_lshrrev_b32_e32 v1, 16, v1
	v_add_nc_u32_e32 v5, ttmp9, v1
	v_mov_b32_e32 v1, 0
	v_mov_b32_e32 v2, 0
	;; [unrolled: 1-line block ×3, first 2 shown]
	s_wait_kmcnt 0x0
	v_cmp_lt_u64_e64 s2, s[10:11], 2
	s_delay_alu instid0(VALU_DEP_1)
	s_and_b32 vcc_lo, exec_lo, s2
	s_cbranch_vccnz .LBB0_8
; %bb.1:
	s_load_b64 s[2:3], s[0:1], 0x10
	v_mov_b32_e32 v1, 0
	v_mov_b32_e32 v2, 0
	s_add_nc_u64 s[16:17], s[14:15], 8
	s_add_nc_u64 s[18:19], s[12:13], 8
	s_mov_b64 s[20:21], 1
	s_delay_alu instid0(VALU_DEP_1)
	v_dual_mov_b32 v13, v2 :: v_dual_mov_b32 v12, v1
	s_wait_kmcnt 0x0
	s_add_nc_u64 s[22:23], s[2:3], 8
	s_mov_b32 s3, 0
.LBB0_2:                                ; =>This Inner Loop Header: Depth=1
	s_load_b64 s[24:25], s[22:23], 0x0
                                        ; implicit-def: $vgpr16_vgpr17
	s_mov_b32 s2, exec_lo
	s_wait_kmcnt 0x0
	v_or_b32_e32 v4, s25, v6
	s_delay_alu instid0(VALU_DEP_1)
	v_cmpx_ne_u64_e32 0, v[3:4]
	s_wait_alu 0xfffe
	s_xor_b32 s26, exec_lo, s2
	s_cbranch_execz .LBB0_4
; %bb.3:                                ;   in Loop: Header=BB0_2 Depth=1
	s_cvt_f32_u32 s2, s24
	s_cvt_f32_u32 s27, s25
	s_sub_nc_u64 s[30:31], 0, s[24:25]
	s_wait_alu 0xfffe
	s_delay_alu instid0(SALU_CYCLE_1) | instskip(SKIP_1) | instid1(SALU_CYCLE_2)
	s_fmamk_f32 s2, s27, 0x4f800000, s2
	s_wait_alu 0xfffe
	v_s_rcp_f32 s2, s2
	s_delay_alu instid0(TRANS32_DEP_1) | instskip(SKIP_1) | instid1(SALU_CYCLE_2)
	s_mul_f32 s2, s2, 0x5f7ffffc
	s_wait_alu 0xfffe
	s_mul_f32 s27, s2, 0x2f800000
	s_wait_alu 0xfffe
	s_delay_alu instid0(SALU_CYCLE_2) | instskip(SKIP_1) | instid1(SALU_CYCLE_2)
	s_trunc_f32 s27, s27
	s_wait_alu 0xfffe
	s_fmamk_f32 s2, s27, 0xcf800000, s2
	s_cvt_u32_f32 s29, s27
	s_wait_alu 0xfffe
	s_delay_alu instid0(SALU_CYCLE_1) | instskip(SKIP_1) | instid1(SALU_CYCLE_2)
	s_cvt_u32_f32 s28, s2
	s_wait_alu 0xfffe
	s_mul_u64 s[34:35], s[30:31], s[28:29]
	s_wait_alu 0xfffe
	s_mul_hi_u32 s37, s28, s35
	s_mul_i32 s36, s28, s35
	s_mul_hi_u32 s2, s28, s34
	s_mul_i32 s33, s29, s34
	s_wait_alu 0xfffe
	s_add_nc_u64 s[36:37], s[2:3], s[36:37]
	s_mul_hi_u32 s27, s29, s34
	s_mul_hi_u32 s38, s29, s35
	s_add_co_u32 s2, s36, s33
	s_wait_alu 0xfffe
	s_add_co_ci_u32 s2, s37, s27
	s_mul_i32 s34, s29, s35
	s_add_co_ci_u32 s35, s38, 0
	s_wait_alu 0xfffe
	s_add_nc_u64 s[34:35], s[2:3], s[34:35]
	s_wait_alu 0xfffe
	v_add_co_u32 v4, s2, s28, s34
	s_delay_alu instid0(VALU_DEP_1) | instskip(SKIP_1) | instid1(VALU_DEP_1)
	s_cmp_lg_u32 s2, 0
	s_add_co_ci_u32 s29, s29, s35
	v_readfirstlane_b32 s28, v4
	s_wait_alu 0xfffe
	s_delay_alu instid0(VALU_DEP_1)
	s_mul_u64 s[30:31], s[30:31], s[28:29]
	s_wait_alu 0xfffe
	s_mul_hi_u32 s35, s28, s31
	s_mul_i32 s34, s28, s31
	s_mul_hi_u32 s2, s28, s30
	s_mul_i32 s33, s29, s30
	s_wait_alu 0xfffe
	s_add_nc_u64 s[34:35], s[2:3], s[34:35]
	s_mul_hi_u32 s27, s29, s30
	s_mul_hi_u32 s28, s29, s31
	s_wait_alu 0xfffe
	s_add_co_u32 s2, s34, s33
	s_add_co_ci_u32 s2, s35, s27
	s_mul_i32 s30, s29, s31
	s_add_co_ci_u32 s31, s28, 0
	s_wait_alu 0xfffe
	s_add_nc_u64 s[30:31], s[2:3], s[30:31]
	s_wait_alu 0xfffe
	v_add_co_u32 v4, s2, v4, s30
	s_delay_alu instid0(VALU_DEP_1) | instskip(SKIP_1) | instid1(VALU_DEP_1)
	s_cmp_lg_u32 s2, 0
	s_add_co_ci_u32 s2, s29, s31
	v_mul_hi_u32 v11, v5, v4
	s_wait_alu 0xfffe
	v_mad_co_u64_u32 v[7:8], null, v5, s2, 0
	v_mad_co_u64_u32 v[9:10], null, v6, v4, 0
	;; [unrolled: 1-line block ×3, first 2 shown]
	s_delay_alu instid0(VALU_DEP_3) | instskip(SKIP_1) | instid1(VALU_DEP_4)
	v_add_co_u32 v4, vcc_lo, v11, v7
	s_wait_alu 0xfffd
	v_add_co_ci_u32_e32 v7, vcc_lo, 0, v8, vcc_lo
	s_delay_alu instid0(VALU_DEP_2) | instskip(SKIP_1) | instid1(VALU_DEP_2)
	v_add_co_u32 v4, vcc_lo, v4, v9
	s_wait_alu 0xfffd
	v_add_co_ci_u32_e32 v4, vcc_lo, v7, v10, vcc_lo
	s_wait_alu 0xfffd
	v_add_co_ci_u32_e32 v7, vcc_lo, 0, v15, vcc_lo
	s_delay_alu instid0(VALU_DEP_2) | instskip(SKIP_1) | instid1(VALU_DEP_2)
	v_add_co_u32 v4, vcc_lo, v4, v14
	s_wait_alu 0xfffd
	v_add_co_ci_u32_e32 v9, vcc_lo, 0, v7, vcc_lo
	s_delay_alu instid0(VALU_DEP_2) | instskip(SKIP_1) | instid1(VALU_DEP_3)
	v_mul_lo_u32 v10, s25, v4
	v_mad_co_u64_u32 v[7:8], null, s24, v4, 0
	v_mul_lo_u32 v11, s24, v9
	s_delay_alu instid0(VALU_DEP_2) | instskip(NEXT) | instid1(VALU_DEP_2)
	v_sub_co_u32 v7, vcc_lo, v5, v7
	v_add3_u32 v8, v8, v11, v10
	s_delay_alu instid0(VALU_DEP_1) | instskip(SKIP_1) | instid1(VALU_DEP_1)
	v_sub_nc_u32_e32 v10, v6, v8
	s_wait_alu 0xfffd
	v_subrev_co_ci_u32_e64 v10, s2, s25, v10, vcc_lo
	v_add_co_u32 v11, s2, v4, 2
	s_wait_alu 0xf1ff
	v_add_co_ci_u32_e64 v14, s2, 0, v9, s2
	v_sub_co_u32 v15, s2, v7, s24
	v_sub_co_ci_u32_e32 v8, vcc_lo, v6, v8, vcc_lo
	s_wait_alu 0xf1ff
	v_subrev_co_ci_u32_e64 v10, s2, 0, v10, s2
	s_delay_alu instid0(VALU_DEP_3) | instskip(NEXT) | instid1(VALU_DEP_3)
	v_cmp_le_u32_e32 vcc_lo, s24, v15
	v_cmp_eq_u32_e64 s2, s25, v8
	s_wait_alu 0xfffd
	v_cndmask_b32_e64 v15, 0, -1, vcc_lo
	v_cmp_le_u32_e32 vcc_lo, s25, v10
	s_wait_alu 0xfffd
	v_cndmask_b32_e64 v16, 0, -1, vcc_lo
	v_cmp_le_u32_e32 vcc_lo, s24, v7
	;; [unrolled: 3-line block ×3, first 2 shown]
	s_wait_alu 0xfffd
	v_cndmask_b32_e64 v17, 0, -1, vcc_lo
	v_cmp_eq_u32_e32 vcc_lo, s25, v10
	s_wait_alu 0xf1ff
	s_delay_alu instid0(VALU_DEP_2)
	v_cndmask_b32_e64 v7, v17, v7, s2
	s_wait_alu 0xfffd
	v_cndmask_b32_e32 v10, v16, v15, vcc_lo
	v_add_co_u32 v15, vcc_lo, v4, 1
	s_wait_alu 0xfffd
	v_add_co_ci_u32_e32 v16, vcc_lo, 0, v9, vcc_lo
	s_delay_alu instid0(VALU_DEP_3) | instskip(SKIP_1) | instid1(VALU_DEP_2)
	v_cmp_ne_u32_e32 vcc_lo, 0, v10
	s_wait_alu 0xfffd
	v_cndmask_b32_e32 v8, v16, v14, vcc_lo
	v_cndmask_b32_e32 v10, v15, v11, vcc_lo
	v_cmp_ne_u32_e32 vcc_lo, 0, v7
	s_wait_alu 0xfffd
	s_delay_alu instid0(VALU_DEP_2)
	v_dual_cndmask_b32 v17, v9, v8 :: v_dual_cndmask_b32 v16, v4, v10
.LBB0_4:                                ;   in Loop: Header=BB0_2 Depth=1
	s_wait_alu 0xfffe
	s_and_not1_saveexec_b32 s2, s26
	s_cbranch_execz .LBB0_6
; %bb.5:                                ;   in Loop: Header=BB0_2 Depth=1
	v_cvt_f32_u32_e32 v4, s24
	s_sub_co_i32 s26, 0, s24
	v_mov_b32_e32 v17, v3
	s_delay_alu instid0(VALU_DEP_2) | instskip(NEXT) | instid1(TRANS32_DEP_1)
	v_rcp_iflag_f32_e32 v4, v4
	v_mul_f32_e32 v4, 0x4f7ffffe, v4
	s_delay_alu instid0(VALU_DEP_1) | instskip(SKIP_1) | instid1(VALU_DEP_1)
	v_cvt_u32_f32_e32 v4, v4
	s_wait_alu 0xfffe
	v_mul_lo_u32 v7, s26, v4
	s_delay_alu instid0(VALU_DEP_1) | instskip(NEXT) | instid1(VALU_DEP_1)
	v_mul_hi_u32 v7, v4, v7
	v_add_nc_u32_e32 v4, v4, v7
	s_delay_alu instid0(VALU_DEP_1) | instskip(NEXT) | instid1(VALU_DEP_1)
	v_mul_hi_u32 v4, v5, v4
	v_mul_lo_u32 v7, v4, s24
	v_add_nc_u32_e32 v8, 1, v4
	s_delay_alu instid0(VALU_DEP_2) | instskip(NEXT) | instid1(VALU_DEP_1)
	v_sub_nc_u32_e32 v7, v5, v7
	v_subrev_nc_u32_e32 v9, s24, v7
	v_cmp_le_u32_e32 vcc_lo, s24, v7
	s_wait_alu 0xfffd
	s_delay_alu instid0(VALU_DEP_2) | instskip(NEXT) | instid1(VALU_DEP_1)
	v_dual_cndmask_b32 v7, v7, v9 :: v_dual_cndmask_b32 v4, v4, v8
	v_cmp_le_u32_e32 vcc_lo, s24, v7
	s_delay_alu instid0(VALU_DEP_2) | instskip(SKIP_1) | instid1(VALU_DEP_1)
	v_add_nc_u32_e32 v8, 1, v4
	s_wait_alu 0xfffd
	v_cndmask_b32_e32 v16, v4, v8, vcc_lo
.LBB0_6:                                ;   in Loop: Header=BB0_2 Depth=1
	s_wait_alu 0xfffe
	s_or_b32 exec_lo, exec_lo, s2
	v_mul_lo_u32 v4, v17, s24
	s_delay_alu instid0(VALU_DEP_2)
	v_mul_lo_u32 v9, v16, s25
	s_load_b64 s[26:27], s[18:19], 0x0
	v_mad_co_u64_u32 v[7:8], null, v16, s24, 0
	s_load_b64 s[24:25], s[16:17], 0x0
	s_add_nc_u64 s[20:21], s[20:21], 1
	s_add_nc_u64 s[16:17], s[16:17], 8
	s_wait_alu 0xfffe
	v_cmp_ge_u64_e64 s2, s[20:21], s[10:11]
	s_add_nc_u64 s[18:19], s[18:19], 8
	s_add_nc_u64 s[22:23], s[22:23], 8
	v_add3_u32 v4, v8, v9, v4
	v_sub_co_u32 v5, vcc_lo, v5, v7
	s_wait_alu 0xfffd
	s_delay_alu instid0(VALU_DEP_2) | instskip(SKIP_2) | instid1(VALU_DEP_1)
	v_sub_co_ci_u32_e32 v4, vcc_lo, v6, v4, vcc_lo
	s_and_b32 vcc_lo, exec_lo, s2
	s_wait_kmcnt 0x0
	v_mul_lo_u32 v6, s26, v4
	v_mul_lo_u32 v7, s27, v5
	v_mad_co_u64_u32 v[1:2], null, s26, v5, v[1:2]
	v_mul_lo_u32 v4, s24, v4
	v_mul_lo_u32 v8, s25, v5
	v_mad_co_u64_u32 v[12:13], null, s24, v5, v[12:13]
	s_delay_alu instid0(VALU_DEP_4) | instskip(NEXT) | instid1(VALU_DEP_2)
	v_add3_u32 v2, v7, v2, v6
	v_add3_u32 v13, v8, v13, v4
	s_wait_alu 0xfffe
	s_cbranch_vccnz .LBB0_9
; %bb.7:                                ;   in Loop: Header=BB0_2 Depth=1
	v_dual_mov_b32 v5, v16 :: v_dual_mov_b32 v6, v17
	s_branch .LBB0_2
.LBB0_8:
	v_dual_mov_b32 v13, v2 :: v_dual_mov_b32 v12, v1
	v_dual_mov_b32 v17, v6 :: v_dual_mov_b32 v16, v5
.LBB0_9:
	s_load_b64 s[0:1], s[0:1], 0x28
	v_mul_hi_u32 v3, 0x1e573ad, v0
	s_lshl_b64 s[10:11], s[10:11], 3
                                        ; implicit-def: $vgpr14
                                        ; implicit-def: $vgpr18
                                        ; implicit-def: $vgpr21
                                        ; implicit-def: $vgpr20
	s_wait_kmcnt 0x0
	v_cmp_gt_u64_e32 vcc_lo, s[0:1], v[16:17]
	v_cmp_le_u64_e64 s0, s[0:1], v[16:17]
	s_delay_alu instid0(VALU_DEP_1)
	s_and_saveexec_b32 s1, s0
	s_wait_alu 0xfffe
	s_xor_b32 s0, exec_lo, s1
; %bb.10:
	v_mul_u32_u24_e32 v1, 0x87, v3
                                        ; implicit-def: $vgpr3
	s_delay_alu instid0(VALU_DEP_1) | instskip(NEXT) | instid1(VALU_DEP_1)
	v_sub_nc_u32_e32 v14, v0, v1
                                        ; implicit-def: $vgpr0
                                        ; implicit-def: $vgpr1_vgpr2
	v_add_nc_u32_e32 v18, 0x87, v14
	v_add_nc_u32_e32 v21, 0x10e, v14
	;; [unrolled: 1-line block ×3, first 2 shown]
; %bb.11:
	s_wait_alu 0xfffe
	s_or_saveexec_b32 s1, s0
	s_add_nc_u64 s[2:3], s[14:15], s[10:11]
	s_wait_alu 0xfffe
	s_xor_b32 exec_lo, exec_lo, s1
	s_cbranch_execz .LBB0_13
; %bb.12:
	s_add_nc_u64 s[10:11], s[12:13], s[10:11]
	v_lshlrev_b64_e32 v[1:2], 3, v[1:2]
	s_load_b64 s[10:11], s[10:11], 0x0
	s_wait_kmcnt 0x0
	v_mul_lo_u32 v6, s11, v16
	v_mul_lo_u32 v7, s10, v17
	v_mad_co_u64_u32 v[4:5], null, s10, v16, 0
	s_delay_alu instid0(VALU_DEP_1) | instskip(SKIP_1) | instid1(VALU_DEP_2)
	v_add3_u32 v5, v5, v7, v6
	v_mul_u32_u24_e32 v6, 0x87, v3
	v_lshlrev_b64_e32 v[3:4], 3, v[4:5]
	s_delay_alu instid0(VALU_DEP_2) | instskip(NEXT) | instid1(VALU_DEP_1)
	v_sub_nc_u32_e32 v14, v0, v6
	v_lshlrev_b32_e32 v15, 3, v14
	s_delay_alu instid0(VALU_DEP_3) | instskip(SKIP_1) | instid1(VALU_DEP_4)
	v_add_co_u32 v0, s0, s4, v3
	s_wait_alu 0xf1ff
	v_add_co_ci_u32_e64 v3, s0, s5, v4, s0
	v_add_nc_u32_e32 v18, 0x87, v14
	s_delay_alu instid0(VALU_DEP_3) | instskip(SKIP_1) | instid1(VALU_DEP_3)
	v_add_co_u32 v0, s0, v0, v1
	s_wait_alu 0xf1ff
	v_add_co_ci_u32_e64 v1, s0, v3, v2, s0
	v_add_nc_u32_e32 v21, 0x10e, v14
	s_delay_alu instid0(VALU_DEP_3) | instskip(SKIP_1) | instid1(VALU_DEP_3)
	v_add_co_u32 v0, s0, v0, v15
	s_wait_alu 0xf1ff
	v_add_co_ci_u32_e64 v1, s0, 0, v1, s0
	s_clause 0x9
	global_load_b64 v[2:3], v[0:1], off
	global_load_b64 v[4:5], v[0:1], off offset:1080
	global_load_b64 v[6:7], v[0:1], off offset:2160
	;; [unrolled: 1-line block ×9, first 2 shown]
	v_add_nc_u32_e32 v15, 0, v15
	v_add_nc_u32_e32 v20, 0x195, v14
	s_delay_alu instid0(VALU_DEP_2)
	v_add_nc_u32_e32 v19, 0x800, v15
	v_add_nc_u32_e32 v30, 0x1000, v15
	;; [unrolled: 1-line block ×4, first 2 shown]
	s_wait_loadcnt 0x8
	ds_store_2addr_b64 v15, v[2:3], v[4:5] offset1:135
	s_wait_loadcnt 0x6
	ds_store_2addr_b64 v19, v[6:7], v[8:9] offset0:14 offset1:149
	s_wait_loadcnt 0x4
	ds_store_2addr_b64 v30, v[10:11], v[22:23] offset0:28 offset1:163
	;; [unrolled: 2-line block ×4, first 2 shown]
.LBB0_13:
	s_or_b32 exec_lo, exec_lo, s1
	v_lshl_add_u32 v38, v14, 3, 0
	s_load_b64 s[2:3], s[2:3], 0x0
	global_wb scope:SCOPE_SE
	s_wait_dscnt 0x0
	s_wait_kmcnt 0x0
	s_barrier_signal -1
	s_barrier_wait -1
	v_add_nc_u32_e32 v2, 0x800, v38
	v_add_nc_u32_e32 v0, 0x1000, v38
	;; [unrolled: 1-line block ×4, first 2 shown]
	global_inv scope:SCOPE_SE
	ds_load_2addr_b64 v[5:8], v38 offset1:135
	ds_load_2addr_b64 v[22:25], v2 offset0:14 offset1:149
	ds_load_2addr_b64 v[26:29], v0 offset0:28 offset1:163
	ds_load_2addr_b64 v[30:33], v1 offset0:42 offset1:177
	ds_load_2addr_b64 v[34:37], v4 offset0:56 offset1:191
	global_wb scope:SCOPE_SE
	s_wait_dscnt 0x0
	s_barrier_signal -1
	s_barrier_wait -1
	global_inv scope:SCOPE_SE
	v_cmp_gt_u32_e64 s0, 45, v14
	v_dual_add_f32 v41, v6, v23 :: v_dual_add_nc_u32 v56, 0xc00, v38
	v_sub_f32_e32 v9, v22, v26
	v_add_f32_e32 v3, v26, v30
	v_dual_sub_f32 v15, v27, v31 :: v_dual_sub_f32 v40, v30, v34
	v_sub_f32_e32 v43, v22, v34
	v_sub_f32_e32 v39, v26, v22
	v_dual_add_f32 v2, v5, v22 :: v_dual_sub_f32 v11, v23, v35
	v_dual_add_f32 v19, v22, v34 :: v_dual_add_f32 v42, v27, v31
	v_sub_f32_e32 v44, v26, v30
	v_add_f32_e32 v22, v23, v35
	s_delay_alu instid0(VALU_DEP_4) | instskip(SKIP_4) | instid1(VALU_DEP_3)
	v_add_f32_e32 v26, v2, v26
	v_fma_f32 v2, -0.5, v3, v5
	v_sub_f32_e32 v10, v34, v30
	v_fma_f32 v3, -0.5, v42, v6
	v_fma_f32 v6, -0.5, v22, v6
	v_dual_add_f32 v22, v28, v32 :: v_dual_add_f32 v45, v9, v10
	v_dual_add_f32 v10, v41, v27 :: v_dual_fmamk_f32 v9, v11, 0x3f737871, v2
	v_fmac_f32_e32 v2, 0xbf737871, v11
	v_fma_f32 v5, -0.5, v19, v5
	s_delay_alu instid0(VALU_DEP_4) | instskip(NEXT) | instid1(VALU_DEP_4)
	v_fma_f32 v22, -0.5, v22, v7
	v_dual_fmac_f32 v9, 0x3f167918, v15 :: v_dual_add_f32 v26, v26, v30
	v_add_f32_e32 v30, v10, v31
	v_fmac_f32_e32 v2, 0xbf167918, v15
	v_fmamk_f32 v10, v43, 0xbf737871, v3
	v_add_f32_e32 v19, v39, v40
	v_fmamk_f32 v39, v15, 0xbf737871, v5
	v_fmac_f32_e32 v5, 0x3f737871, v15
	v_dual_sub_f32 v15, v35, v31 :: v_dual_fmamk_f32 v40, v44, 0x3f737871, v6
	v_fmac_f32_e32 v6, 0xbf737871, v44
	s_delay_alu instid0(VALU_DEP_4) | instskip(NEXT) | instid1(VALU_DEP_4)
	v_fmac_f32_e32 v39, 0x3f167918, v11
	v_dual_fmac_f32 v5, 0xbf167918, v11 :: v_dual_fmac_f32 v10, 0xbf167918, v44
	v_sub_f32_e32 v11, v23, v27
	v_fmac_f32_e32 v40, 0xbf167918, v43
	s_delay_alu instid0(VALU_DEP_4) | instskip(NEXT) | instid1(VALU_DEP_4)
	v_fmac_f32_e32 v39, 0x3e9e377a, v19
	v_fmac_f32_e32 v5, 0x3e9e377a, v19
	v_sub_f32_e32 v19, v31, v35
	v_add_f32_e32 v11, v11, v15
	v_sub_f32_e32 v15, v27, v23
	v_sub_f32_e32 v23, v25, v37
	v_fmac_f32_e32 v3, 0x3f737871, v43
	v_dual_add_f32 v41, v26, v34 :: v_dual_fmac_f32 v2, 0x3e9e377a, v45
	v_fmac_f32_e32 v10, 0x3e9e377a, v11
	v_dual_add_f32 v15, v15, v19 :: v_dual_and_b32 v34, 0xff, v14
	v_add_f32_e32 v19, v7, v24
	v_fmamk_f32 v26, v23, 0x3f737871, v22
	v_dual_fmac_f32 v3, 0x3f167918, v44 :: v_dual_fmac_f32 v6, 0x3f167918, v43
	v_dual_fmac_f32 v9, 0x3e9e377a, v45 :: v_dual_add_f32 v42, v30, v35
	v_fmac_f32_e32 v40, 0x3e9e377a, v15
	s_delay_alu instid0(VALU_DEP_3)
	v_fmac_f32_e32 v3, 0x3e9e377a, v11
	v_add_f32_e32 v11, v19, v28
	v_dual_sub_f32 v19, v29, v33 :: v_dual_fmac_f32 v22, 0xbf737871, v23
	v_sub_f32_e32 v27, v24, v28
	v_sub_f32_e32 v30, v36, v32
	v_dual_add_f32 v31, v24, v36 :: v_dual_fmac_f32 v6, 0x3e9e377a, v15
	s_delay_alu instid0(VALU_DEP_4) | instskip(NEXT) | instid1(VALU_DEP_3)
	v_fmac_f32_e32 v26, 0x3f167918, v19
	v_dual_fmac_f32 v22, 0xbf167918, v19 :: v_dual_add_f32 v27, v27, v30
	v_add_f32_e32 v11, v11, v32
	s_delay_alu instid0(VALU_DEP_4) | instskip(NEXT) | instid1(VALU_DEP_3)
	v_fma_f32 v7, -0.5, v31, v7
	v_dual_sub_f32 v15, v32, v36 :: v_dual_fmac_f32 v26, 0x3e9e377a, v27
	s_delay_alu instid0(VALU_DEP_3) | instskip(NEXT) | instid1(VALU_DEP_3)
	v_add_f32_e32 v30, v11, v36
	v_fmamk_f32 v35, v19, 0xbf737871, v7
	v_dual_sub_f32 v11, v28, v24 :: v_dual_fmac_f32 v22, 0x3e9e377a, v27
	v_fmac_f32_e32 v7, 0x3f737871, v19
	v_add_f32_e32 v19, v8, v25
	s_delay_alu instid0(VALU_DEP_4) | instskip(NEXT) | instid1(VALU_DEP_4)
	v_fmac_f32_e32 v35, 0x3f167918, v23
	v_add_f32_e32 v11, v11, v15
	s_delay_alu instid0(VALU_DEP_4) | instskip(NEXT) | instid1(VALU_DEP_4)
	v_fmac_f32_e32 v7, 0xbf167918, v23
	v_add_f32_e32 v15, v19, v29
	v_sub_f32_e32 v19, v24, v36
	v_add_f32_e32 v31, v29, v33
	v_dual_add_f32 v24, v25, v37 :: v_dual_fmac_f32 v35, 0x3e9e377a, v11
	v_fmac_f32_e32 v7, 0x3e9e377a, v11
	v_add_f32_e32 v11, v15, v33
	s_delay_alu instid0(VALU_DEP_4) | instskip(SKIP_2) | instid1(VALU_DEP_3)
	v_fma_f32 v23, -0.5, v31, v8
	v_dual_sub_f32 v15, v28, v32 :: v_dual_sub_f32 v28, v25, v29
	v_sub_f32_e32 v32, v37, v33
	v_dual_fmac_f32 v8, -0.5, v24 :: v_dual_fmamk_f32 v27, v19, 0xbf737871, v23
	v_add_f32_e32 v31, v11, v37
	v_fmac_f32_e32 v23, 0x3f737871, v19
	s_delay_alu instid0(VALU_DEP_4) | instskip(SKIP_4) | instid1(VALU_DEP_4)
	v_add_f32_e32 v11, v28, v32
	v_mul_lo_u16 v24, 0xcd, v34
	v_dual_fmamk_f32 v36, v15, 0x3f737871, v8 :: v_dual_sub_f32 v25, v29, v25
	v_dual_sub_f32 v28, v33, v37 :: v_dual_fmac_f32 v27, 0xbf167918, v15
	v_fmac_f32_e32 v8, 0xbf737871, v15
	v_lshrrev_b16 v37, 10, v24
	v_fmac_f32_e32 v23, 0x3f167918, v15
	s_delay_alu instid0(VALU_DEP_4) | instskip(SKIP_1) | instid1(VALU_DEP_3)
	v_dual_fmac_f32 v36, 0xbf167918, v19 :: v_dual_add_f32 v15, v25, v28
	v_fmac_f32_e32 v27, 0x3e9e377a, v11
	v_fmac_f32_e32 v23, 0x3e9e377a, v11
	s_delay_alu instid0(VALU_DEP_3) | instskip(SKIP_2) | instid1(VALU_DEP_2)
	v_fmac_f32_e32 v36, 0x3e9e377a, v15
	v_fmac_f32_e32 v8, 0x3f167918, v19
	v_mul_lo_u16 v19, v37, 5
	v_fmac_f32_e32 v8, 0x3e9e377a, v15
	s_delay_alu instid0(VALU_DEP_2)
	v_sub_nc_u16 v11, v14, v19
	v_lshl_add_u32 v19, v14, 5, v38
	ds_store_2addr_b64 v19, v[41:42], v[9:10] offset1:1
	ds_store_2addr_b64 v19, v[39:40], v[5:6] offset0:2 offset1:3
	v_and_b32_e32 v11, 0xff, v11
	v_mad_i32_i24 v15, v18, 40, 0
	ds_store_b64 v19, v[2:3] offset:32
	ds_store_2addr_b64 v15, v[30:31], v[26:27] offset1:1
	ds_store_2addr_b64 v15, v[35:36], v[7:8] offset0:2 offset1:3
	ds_store_b64 v15, v[22:23] offset:32
	v_mul_u32_u24_e32 v5, 9, v11
	global_wb scope:SCOPE_SE
	s_wait_dscnt 0x0
	s_barrier_signal -1
	s_barrier_wait -1
	global_inv scope:SCOPE_SE
	v_lshlrev_b32_e32 v2, 3, v5
	s_clause 0x4
	global_load_b128 v[5:8], v2, s[8:9]
	global_load_b128 v[22:25], v2, s[8:9] offset:16
	global_load_b128 v[26:29], v2, s[8:9] offset:32
	;; [unrolled: 1-line block ×3, first 2 shown]
	global_load_b64 v[9:10], v2, s[8:9] offset:64
	v_lshlrev_b32_e32 v19, 5, v18
	v_lshl_add_u32 v39, v20, 3, 0
	v_and_b32_e32 v2, 0xffff, v37
	v_lshl_add_u32 v40, v21, 3, 0
	s_delay_alu instid0(VALU_DEP_4)
	v_sub_nc_u32_e32 v55, v15, v19
	ds_load_b64 v[35:36], v55
	ds_load_b64 v[49:50], v40
	;; [unrolled: 1-line block ×3, first 2 shown]
	ds_load_2addr_b64 v[41:44], v0 offset0:28 offset1:163
	v_mul_u32_u24_e32 v37, 0x190, v2
	ds_load_2addr_b64 v[0:3], v1 offset0:42 offset1:177
	ds_load_b64 v[53:54], v38
	ds_load_2addr_b64 v[45:48], v4 offset0:56 offset1:191
	global_wb scope:SCOPE_SE
	s_wait_loadcnt_dscnt 0x0
	s_barrier_signal -1
	s_barrier_wait -1
	global_inv scope:SCOPE_SE
	v_mul_f32_e32 v58, v8, v50
	v_mul_f32_e32 v8, v8, v49
	v_mul_f32_e32 v60, v25, v42
	v_mul_f32_e32 v25, v25, v41
	v_mul_f32_e32 v64, v46, v33
	s_delay_alu instid0(VALU_DEP_4) | instskip(NEXT) | instid1(VALU_DEP_3)
	v_dual_mul_f32 v33, v45, v33 :: v_dual_fmac_f32 v8, v7, v50
	v_dual_mul_f32 v62, v1, v29 :: v_dual_fmac_f32 v25, v24, v42
	v_mul_f32_e32 v63, v3, v31
	s_delay_alu instid0(VALU_DEP_3) | instskip(SKIP_2) | instid1(VALU_DEP_1)
	v_fmac_f32_e32 v33, v46, v32
	v_mul_f32_e32 v59, v23, v52
	v_mul_f32_e32 v23, v23, v51
	v_fmac_f32_e32 v23, v22, v52
	v_mul_f32_e32 v65, v48, v10
	v_mul_f32_e32 v10, v47, v10
	s_delay_alu instid0(VALU_DEP_1) | instskip(SKIP_3) | instid1(VALU_DEP_3)
	v_fmac_f32_e32 v10, v48, v9
	v_mul_f32_e32 v29, v0, v29
	v_fma_f32 v0, v0, v28, -v62
	v_add_f32_e32 v48, v8, v33
	v_dual_sub_f32 v52, v23, v10 :: v_dual_fmac_f32 v29, v1, v28
	v_fma_f32 v1, v2, v30, -v63
	v_mul_f32_e32 v31, v2, v31
	v_fma_f32 v2, v45, v32, -v64
	v_dual_sub_f32 v28, v8, v33 :: v_dual_lshlrev_b32 v11, 3, v11
	s_delay_alu instid0(VALU_DEP_3) | instskip(NEXT) | instid1(VALU_DEP_3)
	v_fmac_f32_e32 v31, v3, v30
	v_sub_f32_e32 v42, v0, v2
	s_delay_alu instid0(VALU_DEP_3) | instskip(NEXT) | instid1(VALU_DEP_3)
	v_add3_u32 v11, 0, v37, v11
	v_sub_f32_e32 v68, v10, v31
	v_dual_mul_f32 v37, v6, v36 :: v_dual_sub_f32 v46, v8, v25
	v_mul_f32_e32 v6, v6, v35
	v_sub_f32_e32 v70, v31, v10
	s_delay_alu instid0(VALU_DEP_3) | instskip(NEXT) | instid1(VALU_DEP_3)
	v_fma_f32 v35, v5, v35, -v37
	v_fmac_f32_e32 v6, v5, v36
	v_fma_f32 v5, v7, v49, -v58
	v_fma_f32 v7, v22, v51, -v59
	v_mul_f32_e32 v61, v27, v44
	v_fma_f32 v22, v24, v41, -v60
	v_add_f32_e32 v64, v6, v23
	v_fma_f32 v3, v47, v9, -v65
	v_sub_f32_e32 v36, v2, v0
	v_fma_f32 v24, v26, v43, -v61
	v_dual_mul_f32 v27, v27, v43 :: v_dual_sub_f32 v32, v5, v22
	v_sub_f32_e32 v41, v22, v5
	v_dual_sub_f32 v45, v22, v0 :: v_dual_add_f32 v50, v35, v7
	v_add_f32_e32 v9, v53, v5
	v_sub_f32_e32 v59, v7, v24
	v_dual_sub_f32 v60, v3, v1 :: v_dual_add_f32 v37, v5, v2
	v_dual_sub_f32 v66, v24, v1 :: v_dual_fmac_f32 v27, v26, v44
	v_dual_add_f32 v26, v22, v0 :: v_dual_add_f32 v51, v24, v1
	v_add_f32_e32 v61, v7, v3
	v_sub_f32_e32 v62, v24, v7
	v_sub_f32_e32 v7, v7, v3
	;; [unrolled: 1-line block ×3, first 2 shown]
	v_fma_f32 v71, -0.5, v26, v53
	v_add_f32_e32 v26, v41, v42
	v_dual_add_f32 v24, v50, v24 :: v_dual_add_f32 v9, v9, v22
	v_add_f32_e32 v22, v32, v36
	v_add_f32_e32 v42, v59, v60
	v_fma_f32 v32, -0.5, v37, v53
	v_add_f32_e32 v43, v54, v8
	v_sub_f32_e32 v8, v25, v8
	v_add_f32_e32 v0, v9, v0
	v_fma_f32 v41, -0.5, v51, v35
	s_delay_alu instid0(VALU_DEP_3) | instskip(SKIP_4) | instid1(VALU_DEP_4)
	v_dual_add_f32 v8, v8, v49 :: v_dual_add_nc_u32 v57, 0x1600, v38
	v_add_f32_e32 v44, v25, v29
	v_sub_f32_e32 v30, v25, v29
	v_sub_f32_e32 v5, v5, v2
	v_add_f32_e32 v2, v0, v2
	v_fma_f32 v36, -0.5, v44, v54
	v_fmac_f32_e32 v54, -0.5, v48
	v_fmamk_f32 v48, v30, 0xbf737871, v32
	v_sub_f32_e32 v58, v27, v31
	v_dual_fmac_f32 v32, 0x3f737871, v30 :: v_dual_add_f32 v25, v43, v25
	v_add_f32_e32 v65, v27, v31
	s_delay_alu instid0(VALU_DEP_4) | instskip(NEXT) | instid1(VALU_DEP_3)
	v_dual_sub_f32 v67, v23, v27 :: v_dual_fmac_f32 v48, 0x3f167918, v28
	v_dual_fmac_f32 v32, 0xbf167918, v28 :: v_dual_add_f32 v9, v25, v29
	v_fmamk_f32 v25, v5, 0xbf737871, v36
	v_dual_fmac_f32 v36, 0x3f737871, v5 :: v_dual_add_f32 v69, v23, v10
	v_fma_f32 v44, -0.5, v65, v6
	s_delay_alu instid0(VALU_DEP_4) | instskip(SKIP_1) | instid1(VALU_DEP_4)
	v_fmac_f32_e32 v32, 0x3e9e377a, v26
	v_fmac_f32_e32 v48, 0x3e9e377a, v26
	;; [unrolled: 1-line block ×3, first 2 shown]
	v_fmac_f32_e32 v6, -0.5, v69
	v_sub_f32_e32 v47, v33, v29
	v_sub_f32_e32 v63, v1, v3
	v_fmamk_f32 v29, v45, 0x3f737871, v54
	v_dual_fmac_f32 v54, 0xbf737871, v45 :: v_dual_sub_f32 v23, v27, v23
	v_add_f32_e32 v27, v64, v27
	v_add_f32_e32 v1, v24, v1
	v_fmamk_f32 v24, v52, 0x3f737871, v41
	v_fmamk_f32 v50, v66, 0x3f737871, v6
	s_delay_alu instid0(VALU_DEP_4) | instskip(SKIP_1) | instid1(VALU_DEP_4)
	v_dual_fmac_f32 v54, 0x3f167918, v5 :: v_dual_add_f32 v27, v27, v31
	v_fmamk_f32 v31, v7, 0xbf737871, v44
	v_fmac_f32_e32 v24, 0x3f167918, v58
	v_fmac_f32_e32 v44, 0x3f737871, v7
	v_dual_add_f32 v37, v46, v47 :: v_dual_add_f32 v46, v67, v68
	s_delay_alu instid0(VALU_DEP_4) | instskip(NEXT) | instid1(VALU_DEP_4)
	v_fmac_f32_e32 v31, 0xbf167918, v66
	v_fmac_f32_e32 v24, 0x3e9e377a, v42
	s_delay_alu instid0(VALU_DEP_4) | instskip(NEXT) | instid1(VALU_DEP_4)
	v_fmac_f32_e32 v44, 0x3f167918, v66
	v_dual_add_f32 v23, v23, v70 :: v_dual_fmac_f32 v36, 0x3e9e377a, v37
	v_fmac_f32_e32 v50, 0xbf167918, v7
	v_dual_fmac_f32 v54, 0x3e9e377a, v8 :: v_dual_add_f32 v9, v9, v33
	v_fmac_f32_e32 v31, 0x3e9e377a, v46
	v_mul_f32_e32 v33, 0xbf167918, v24
	s_delay_alu instid0(VALU_DEP_4) | instskip(SKIP_2) | instid1(VALU_DEP_4)
	v_fmac_f32_e32 v50, 0x3e9e377a, v23
	v_dual_fmac_f32 v6, 0xbf737871, v66 :: v_dual_fmac_f32 v35, -0.5, v61
	v_fmac_f32_e32 v44, 0x3e9e377a, v46
	v_fmac_f32_e32 v33, 0x3f4f1bbd, v31
	;; [unrolled: 1-line block ×3, first 2 shown]
	s_delay_alu instid0(VALU_DEP_4) | instskip(SKIP_2) | instid1(VALU_DEP_4)
	v_fmac_f32_e32 v6, 0x3f167918, v7
	v_add_f32_e32 v43, v62, v63
	v_mul_f32_e32 v26, 0x3f167918, v31
	v_fmac_f32_e32 v41, 0xbf167918, v58
	s_delay_alu instid0(VALU_DEP_4)
	v_fmac_f32_e32 v6, 0x3e9e377a, v23
	v_add_f32_e32 v3, v1, v3
	v_fmamk_f32 v47, v28, 0x3f737871, v71
	v_fmac_f32_e32 v71, 0xbf737871, v28
	v_fmac_f32_e32 v41, 0x3e9e377a, v42
	;; [unrolled: 1-line block ×3, first 2 shown]
	v_add_f32_e32 v0, v2, v3
	s_delay_alu instid0(VALU_DEP_4) | instskip(NEXT) | instid1(VALU_DEP_4)
	v_dual_sub_f32 v2, v2, v3 :: v_dual_fmac_f32 v71, 0xbf167918, v30
	v_mul_f32_e32 v7, 0x3f4f1bbd, v41
	v_fmac_f32_e32 v47, 0x3f167918, v30
	s_delay_alu instid0(VALU_DEP_3) | instskip(NEXT) | instid1(VALU_DEP_3)
	v_fmac_f32_e32 v71, 0x3e9e377a, v22
	v_fma_f32 v42, 0x3f167918, v44, -v7
	v_fmac_f32_e32 v29, 0xbf167918, v5
	v_add_f32_e32 v5, v27, v10
	v_mul_f32_e32 v27, 0x3f737871, v50
	v_fmac_f32_e32 v47, 0x3e9e377a, v22
	s_delay_alu instid0(VALU_DEP_4) | instskip(SKIP_4) | instid1(VALU_DEP_4)
	v_dual_add_f32 v22, v71, v42 :: v_dual_fmac_f32 v29, 0x3e9e377a, v8
	v_fmamk_f32 v49, v58, 0xbf737871, v35
	v_fmac_f32_e32 v25, 0xbf167918, v45
	v_add_f32_e32 v1, v9, v5
	v_dual_sub_f32 v3, v9, v5 :: v_dual_mul_f32 v8, 0x3e9e377a, v6
	v_fmac_f32_e32 v49, 0x3f167918, v52
	v_mul_f32_e32 v9, 0x3f4f1bbd, v44
	s_delay_alu instid0(VALU_DEP_2) | instskip(NEXT) | instid1(VALU_DEP_1)
	v_fmac_f32_e32 v49, 0x3e9e377a, v43
	v_fmac_f32_e32 v27, 0x3e9e377a, v49
	s_delay_alu instid0(VALU_DEP_1) | instskip(NEXT) | instid1(VALU_DEP_1)
	v_dual_fmac_f32 v35, 0x3f737871, v58 :: v_dual_sub_f32 v28, v48, v27
	v_fmac_f32_e32 v35, 0xbf167918, v52
	v_add_f32_e32 v7, v48, v27
	s_delay_alu instid0(VALU_DEP_2) | instskip(NEXT) | instid1(VALU_DEP_1)
	v_fmac_f32_e32 v35, 0x3e9e377a, v43
	v_mul_f32_e32 v5, 0x3e9e377a, v35
	v_fma_f32 v31, 0xbf737871, v35, -v8
	v_fma_f32 v35, 0xbf167918, v41, -v9
	s_delay_alu instid0(VALU_DEP_3) | instskip(SKIP_3) | instid1(VALU_DEP_4)
	v_fma_f32 v24, 0x3f737871, v6, -v5
	v_add_f32_e32 v5, v47, v26
	v_dual_sub_f32 v26, v47, v26 :: v_dual_fmac_f32 v25, 0x3e9e377a, v37
	v_mul_f32_e32 v37, 0xbf737871, v49
	v_dual_add_f32 v9, v32, v24 :: v_dual_add_f32 v10, v54, v31
	s_delay_alu instid0(VALU_DEP_3) | instskip(NEXT) | instid1(VALU_DEP_3)
	v_dual_add_f32 v23, v36, v35 :: v_dual_add_f32 v6, v25, v33
	v_fmac_f32_e32 v37, 0x3e9e377a, v50
	v_dual_sub_f32 v27, v25, v33 :: v_dual_sub_f32 v30, v32, v24
	v_dual_sub_f32 v24, v71, v42 :: v_dual_sub_f32 v31, v54, v31
	s_delay_alu instid0(VALU_DEP_3)
	v_add_f32_e32 v8, v29, v37
	v_sub_f32_e32 v29, v29, v37
	v_sub_f32_e32 v25, v36, v35
	ds_store_2addr_b64 v11, v[0:1], v[5:6] offset1:5
	ds_store_2addr_b64 v11, v[7:8], v[9:10] offset0:10 offset1:15
	ds_store_2addr_b64 v11, v[22:23], v[2:3] offset0:20 offset1:25
	;; [unrolled: 1-line block ×4, first 2 shown]
	global_wb scope:SCOPE_SE
	s_wait_dscnt 0x0
	s_barrier_signal -1
	s_barrier_wait -1
	global_inv scope:SCOPE_SE
	ds_load_b64 v[30:31], v38
	ds_load_2addr_b64 v[8:11], v56 offset0:66 offset1:201
	ds_load_2addr_b64 v[0:3], v57 offset0:16 offset1:196
	;; [unrolled: 1-line block ×3, first 2 shown]
	ds_load_b64 v[28:29], v55
	ds_load_b64 v[26:27], v40
                                        ; implicit-def: $vgpr23
                                        ; implicit-def: $vgpr33
	s_and_saveexec_b32 s1, s0
	s_cbranch_execz .LBB0_15
; %bb.14:
	ds_load_b64 v[32:33], v38 offset:6840
	ds_load_b64 v[24:25], v39
	ds_load_b64 v[22:23], v38 offset:10440
.LBB0_15:
	s_wait_alu 0xfffe
	s_or_b32 exec_lo, exec_lo, s1
	v_lshrrev_b16 v35, 1, v18
	v_mul_lo_u16 v34, v34, 41
	v_lshrrev_b16 v36, 1, v21
	v_sub_nc_u32_e32 v19, 0, v19
	s_delay_alu instid0(VALU_DEP_4) | instskip(NEXT) | instid1(VALU_DEP_4)
	v_and_b32_e32 v37, 0xffff, v35
	v_lshrrev_b16 v57, 11, v34
	s_delay_alu instid0(VALU_DEP_4) | instskip(SKIP_1) | instid1(VALU_DEP_4)
	v_and_b32_e32 v35, 0xffff, v36
	v_lshrrev_b16 v34, 1, v20
	v_mul_u32_u24_e32 v36, 0x147b, v37
	s_delay_alu instid0(VALU_DEP_4) | instskip(NEXT) | instid1(VALU_DEP_4)
	v_mul_lo_u16 v37, v57, 50
	v_mul_u32_u24_e32 v41, 0x147b, v35
	v_and_b32_e32 v57, 0xffff, v57
	s_delay_alu instid0(VALU_DEP_4) | instskip(NEXT) | instid1(VALU_DEP_4)
	v_lshrrev_b32_e32 v58, 17, v36
	v_sub_nc_u16 v36, v14, v37
	s_delay_alu instid0(VALU_DEP_4) | instskip(NEXT) | instid1(VALU_DEP_4)
	v_lshrrev_b32_e32 v59, 17, v41
	v_mul_u32_u24_e32 v57, 0x4b0, v57
	s_delay_alu instid0(VALU_DEP_4) | instskip(NEXT) | instid1(VALU_DEP_4)
	v_mul_lo_u16 v41, v58, 50
	v_and_b32_e32 v60, 0xff, v36
	v_mul_u32_u24_e32 v58, 0x4b0, v58
	s_delay_alu instid0(VALU_DEP_3) | instskip(NEXT) | instid1(VALU_DEP_3)
	v_sub_nc_u16 v41, v18, v41
	v_lshlrev_b32_e32 v42, 4, v60
	v_lshlrev_b32_e32 v60, 3, v60
	s_delay_alu instid0(VALU_DEP_3)
	v_and_b32_e32 v61, 0xffff, v41
	global_load_b128 v[41:44], v42, s[8:9] offset:360
	v_add3_u32 v57, 0, v57, v60
	v_lshlrev_b32_e32 v45, 4, v61
	global_load_b128 v[45:48], v45, s[8:9] offset:360
	v_and_b32_e32 v34, 0xffff, v34
	s_wait_loadcnt_dscnt 0x103
	v_dual_mul_f32 v61, v44, v3 :: v_dual_lshlrev_b32 v60, 3, v61
	s_delay_alu instid0(VALU_DEP_2) | instskip(SKIP_1) | instid1(VALU_DEP_3)
	v_mul_u32_u24_e32 v37, 0x147b, v34
	v_mul_f32_e32 v44, v44, v2
	v_fma_f32 v2, v43, v2, -v61
	s_delay_alu instid0(VALU_DEP_3)
	v_lshrrev_b32_e32 v36, 17, v37
	v_mul_lo_u16 v37, v59, 50
	v_mul_u32_u24_e32 v59, 0x4b0, v59
	s_wait_loadcnt_dscnt 0x2
	v_dual_fmac_f32 v44, v43, v3 :: v_dual_mul_f32 v43, v48, v4
	v_mul_lo_u16 v36, v36, 50
	v_sub_nc_u16 v37, v21, v37
	v_add3_u32 v58, 0, v58, v60
	v_mul_f32_e32 v60, v42, v9
	v_mul_f32_e32 v42, v42, v8
	v_sub_nc_u16 v36, v20, v36
	v_and_b32_e32 v37, 0xffff, v37
	v_mul_f32_e32 v3, v46, v11
	v_fma_f32 v8, v41, v8, -v60
	v_fmac_f32_e32 v42, v41, v9
	v_dual_mul_f32 v41, v48, v5 :: v_dual_and_b32 v36, 0xffff, v36
	v_lshlrev_b32_e32 v49, 4, v37
	v_mul_f32_e32 v9, v46, v10
	v_add_f32_e32 v61, v30, v8
	s_delay_alu instid0(VALU_DEP_4)
	v_dual_add_f32 v62, v8, v2 :: v_dual_lshlrev_b32 v53, 4, v36
	v_sub_f32_e32 v63, v42, v44
	s_clause 0x1
	global_load_b128 v[49:52], v49, s[8:9] offset:360
	global_load_b128 v[53:56], v53, s[8:9] offset:360
	v_lshlrev_b32_e32 v37, 3, v37
	v_fma_f32 v10, v45, v10, -v3
	v_fma_f32 v4, v47, v4, -v41
	v_fma_f32 v30, -0.5, v62, v30
	global_wb scope:SCOPE_SE
	s_wait_loadcnt_dscnt 0x0
	v_add3_u32 v37, 0, v59, v37
	s_barrier_signal -1
	s_barrier_wait -1
	global_inv scope:SCOPE_SE
	v_fmac_f32_e32 v9, v45, v11
	v_dual_fmac_f32 v43, v47, v5 :: v_dual_sub_f32 v8, v8, v2
	v_add_f32_e32 v64, v31, v42
	v_add_f32_e32 v42, v42, v44
	v_mul_f32_e32 v46, v50, v1
	v_mul_f32_e32 v48, v50, v0
	v_mul_f32_e32 v50, v52, v7
	v_mul_f32_e32 v52, v52, v6
	v_mul_f32_e32 v59, v33, v54
	v_mul_f32_e32 v54, v32, v54
	v_mul_f32_e32 v60, v23, v56
	v_mul_f32_e32 v56, v22, v56
	v_fma_f32 v5, v49, v0, -v46
	v_fmac_f32_e32 v52, v51, v7
	v_fma_f32 v7, v32, v53, -v59
	v_sub_f32_e32 v32, v9, v43
	v_dual_fmac_f32 v56, v23, v55 :: v_dual_add_f32 v23, v29, v9
	v_dual_fmac_f32 v48, v49, v1 :: v_dual_fmac_f32 v31, -0.5, v42
	v_add_f32_e32 v9, v9, v43
	v_fmac_f32_e32 v54, v33, v53
	v_fma_f32 v6, v51, v6, -v50
	v_fma_f32 v11, v22, v55, -v60
	v_fmamk_f32 v3, v8, 0xbf5db3d7, v31
	v_fmac_f32_e32 v31, 0x3f5db3d7, v8
	v_dual_add_f32 v33, v26, v5 :: v_dual_add_f32 v8, v28, v10
	v_add_f32_e32 v51, v54, v56
	v_dual_add_f32 v1, v64, v44 :: v_dual_add_f32 v0, v61, v2
	v_add_f32_e32 v45, v48, v52
	v_dual_add_f32 v22, v10, v4 :: v_dual_add_f32 v47, v24, v7
	v_sub_f32_e32 v42, v48, v52
	s_delay_alu instid0(VALU_DEP_3)
	v_dual_add_f32 v44, v27, v48 :: v_dual_fmac_f32 v27, -0.5, v45
	v_dual_add_f32 v50, v25, v54 :: v_dual_fmac_f32 v25, -0.5, v51
	v_add_f32_e32 v48, v7, v11
	v_dual_fmamk_f32 v2, v63, 0x3f5db3d7, v30 :: v_dual_add_f32 v41, v5, v6
	v_dual_fmac_f32 v30, 0xbf5db3d7, v63 :: v_dual_sub_f32 v49, v54, v56
	v_dual_sub_f32 v10, v10, v4 :: v_dual_sub_f32 v53, v7, v11
	v_dual_sub_f32 v46, v5, v6 :: v_dual_add_f32 v7, v44, v52
	v_fma_f32 v28, -0.5, v22, v28
	v_add_f32_e32 v5, v23, v43
	v_fmac_f32_e32 v29, -0.5, v9
	v_add_f32_e32 v23, v50, v56
	v_fmac_f32_e32 v24, -0.5, v48
	v_fma_f32 v26, -0.5, v41, v26
	v_add_f32_e32 v4, v8, v4
	v_add_f32_e32 v6, v33, v6
	;; [unrolled: 1-line block ×3, first 2 shown]
	ds_store_2addr_b64 v57, v[0:1], v[2:3] offset1:50
	ds_store_b64 v57, v[30:31] offset:800
	v_fmamk_f32 v0, v32, 0x3f5db3d7, v28
	v_dual_fmac_f32 v28, 0xbf5db3d7, v32 :: v_dual_fmamk_f32 v31, v53, 0xbf5db3d7, v25
	v_fmamk_f32 v1, v10, 0xbf5db3d7, v29
	v_fmamk_f32 v3, v46, 0xbf5db3d7, v27
	v_dual_fmac_f32 v27, 0x3f5db3d7, v46 :: v_dual_fmamk_f32 v30, v49, 0x3f5db3d7, v24
	v_fmac_f32_e32 v24, 0xbf5db3d7, v49
	v_fmac_f32_e32 v25, 0x3f5db3d7, v53
	v_dual_fmac_f32 v29, 0x3f5db3d7, v10 :: v_dual_fmamk_f32 v2, v42, 0x3f5db3d7, v26
	v_fmac_f32_e32 v26, 0xbf5db3d7, v42
	ds_store_2addr_b64 v58, v[4:5], v[0:1] offset1:50
	ds_store_b64 v58, v[28:29] offset:800
	ds_store_2addr_b64 v37, v[6:7], v[2:3] offset1:50
	ds_store_b64 v37, v[26:27] offset:800
	s_and_saveexec_b32 s1, s0
	s_cbranch_execz .LBB0_17
; %bb.16:
	v_lshl_add_u32 v0, v36, 3, 0
	s_delay_alu instid0(VALU_DEP_1)
	v_add_nc_u32_e32 v1, 0x2000, v0
	ds_store_2addr_b64 v1, v[22:23], v[30:31] offset0:176 offset1:226
	ds_store_b64 v0, v[24:25] offset:10400
.LBB0_17:
	s_wait_alu 0xfffe
	s_or_b32 exec_lo, exec_lo, s1
	v_add_nc_u32_e32 v0, 0xc00, v38
	v_add_nc_u32_e32 v1, 0x1600, v38
	;; [unrolled: 1-line block ×4, first 2 shown]
	global_wb scope:SCOPE_SE
	s_wait_dscnt 0x0
	s_barrier_signal -1
	s_barrier_wait -1
	global_inv scope:SCOPE_SE
	ds_load_b64 v[32:33], v38
	ds_load_2addr_b64 v[8:11], v0 offset0:66 offset1:201
	ds_load_2addr_b64 v[4:7], v1 offset0:16 offset1:196
	;; [unrolled: 1-line block ×3, first 2 shown]
	ds_load_b64 v[28:29], v41
	ds_load_b64 v[26:27], v40
	s_and_saveexec_b32 s1, s0
	s_cbranch_execz .LBB0_19
; %bb.18:
	ds_load_b64 v[30:31], v38 offset:6840
	ds_load_b64 v[22:23], v39
	ds_load_b64 v[24:25], v38 offset:10440
.LBB0_19:
	s_wait_alu 0xfffe
	s_or_b32 exec_lo, exec_lo, s1
	v_add_nc_u32_e32 v15, -15, v14
	v_dual_mov_b32 v37, 0 :: v_dual_lshlrev_b32 v36, 1, v14
	v_cmp_gt_u32_e64 s1, 15, v14
	v_mul_u32_u24_e32 v19, 0xda75, v35
	s_wait_alu 0xf1ff
	s_delay_alu instid0(VALU_DEP_2) | instskip(SKIP_3) | instid1(VALU_DEP_3)
	v_cndmask_b32_e64 v58, v15, v18, s1
	v_mul_u32_u24_e32 v15, 0xda75, v34
	v_lshlrev_b64_e32 v[34:35], 3, v[36:37]
	v_lshrrev_b32_e32 v19, 22, v19
	v_lshrrev_b32_e32 v15, 22, v15
	s_delay_alu instid0(VALU_DEP_3) | instskip(NEXT) | instid1(VALU_DEP_3)
	v_add_co_u32 v34, s1, s8, v34
	v_mul_lo_u16 v42, 0x96, v19
	s_wait_alu 0xf1ff
	v_add_co_ci_u32_e64 v35, s1, s9, v35, s1
	v_mul_lo_u16 v15, 0x96, v15
	v_mul_u32_u24_e32 v19, 0xe10, v19
	v_sub_nc_u16 v46, v21, v42
	global_load_b128 v[42:45], v[34:35], off offset:1160
	v_lshlrev_b32_e32 v36, 1, v58
	v_sub_nc_u16 v15, v20, v15
	v_and_b32_e32 v59, 0xffff, v46
	s_delay_alu instid0(VALU_DEP_3) | instskip(NEXT) | instid1(VALU_DEP_1)
	v_lshlrev_b64_e32 v[36:37], 3, v[36:37]
	v_add_co_u32 v36, s1, s8, v36
	s_wait_alu 0xf1ff
	s_delay_alu instid0(VALU_DEP_2) | instskip(SKIP_4) | instid1(VALU_DEP_2)
	v_add_co_ci_u32_e64 v37, s1, s9, v37, s1
	v_cmp_lt_u32_e64 s1, 14, v14
	global_load_b128 v[46:49], v[36:37], off offset:1160
	v_and_b32_e32 v15, 0xffff, v15
	v_lshlrev_b32_e32 v36, 4, v59
	v_lshlrev_b32_e32 v37, 4, v15
	s_clause 0x1
	global_load_b128 v[50:53], v36, s[8:9] offset:1160
	global_load_b128 v[54:57], v37, s[8:9] offset:1160
	v_lshlrev_b32_e32 v37, 3, v58
	s_wait_alu 0xf1ff
	v_cndmask_b32_e64 v36, 0, 0xe10, s1
	global_wb scope:SCOPE_SE
	s_wait_loadcnt_dscnt 0x0
	s_barrier_signal -1
	s_barrier_wait -1
	global_inv scope:SCOPE_SE
	v_mul_f32_e32 v58, v43, v9
	v_mul_f32_e32 v43, v43, v8
	s_delay_alu instid0(VALU_DEP_2) | instskip(NEXT) | instid1(VALU_DEP_2)
	v_fma_f32 v8, v42, v8, -v58
	v_dual_fmac_f32 v43, v42, v9 :: v_dual_mul_f32 v42, v49, v0
	s_delay_alu instid0(VALU_DEP_1) | instskip(SKIP_1) | instid1(VALU_DEP_3)
	v_fmac_f32_e32 v42, v48, v1
	v_mul_f32_e32 v60, v53, v3
	v_add_f32_e32 v58, v33, v43
	v_add3_u32 v36, 0, v36, v37
	v_dual_mul_f32 v62, v25, v57 :: v_dual_lshlrev_b32 v37, 3, v59
	v_mul_f32_e32 v59, v45, v7
	v_mul_f32_e32 v45, v45, v6
	s_delay_alu instid0(VALU_DEP_3) | instskip(NEXT) | instid1(VALU_DEP_3)
	v_add3_u32 v19, 0, v19, v37
	v_fma_f32 v6, v44, v6, -v59
	s_delay_alu instid0(VALU_DEP_3) | instskip(SKIP_3) | instid1(VALU_DEP_3)
	v_fmac_f32_e32 v45, v44, v7
	v_dual_add_f32 v44, v32, v8 :: v_dual_mul_f32 v7, v47, v11
	v_mul_f32_e32 v59, v51, v5
	v_mul_f32_e32 v51, v51, v4
	v_fma_f32 v7, v46, v10, -v7
	v_mul_f32_e32 v37, v49, v1
	v_sub_f32_e32 v49, v43, v45
	v_mul_f32_e32 v9, v47, v10
	v_fmac_f32_e32 v51, v50, v5
	v_add_f32_e32 v47, v8, v6
	v_fma_f32 v10, v48, v0, -v37
	v_mul_f32_e32 v61, v31, v55
	v_dual_mul_f32 v55, v30, v55 :: v_dual_add_f32 v0, v44, v6
	v_add_f32_e32 v44, v27, v51
	v_fma_f32 v32, -0.5, v47, v32
	v_sub_f32_e32 v8, v8, v6
	v_fma_f32 v6, v52, v2, -v60
	v_fma_f32 v5, v30, v54, -v61
	v_fmac_f32_e32 v55, v31, v54
	v_mul_f32_e32 v53, v53, v2
	v_fmamk_f32 v2, v49, 0x3f5db3d7, v32
	v_dual_fmac_f32 v32, 0xbf5db3d7, v49 :: v_dual_fmac_f32 v9, v46, v11
	v_fma_f32 v11, v24, v56, -v62
	v_add_f32_e32 v47, v22, v5
	s_delay_alu instid0(VALU_DEP_2) | instskip(SKIP_3) | instid1(VALU_DEP_4)
	v_dual_add_f32 v1, v58, v45 :: v_dual_add_f32 v48, v5, v11
	v_fma_f32 v4, v50, v4, -v59
	v_add_f32_e32 v43, v43, v45
	v_add_f32_e32 v50, v23, v55
	v_fmac_f32_e32 v22, -0.5, v48
	s_delay_alu instid0(VALU_DEP_4) | instskip(NEXT) | instid1(VALU_DEP_4)
	v_sub_f32_e32 v46, v4, v6
	v_dual_sub_f32 v30, v9, v42 :: v_dual_fmac_f32 v33, -0.5, v43
	v_add_f32_e32 v31, v26, v4
	v_dual_mul_f32 v57, v24, v57 :: v_dual_add_f32 v24, v7, v10
	v_add_f32_e32 v37, v4, v6
	s_delay_alu instid0(VALU_DEP_1)
	v_fma_f32 v26, -0.5, v37, v26
	v_fmac_f32_e32 v53, v52, v3
	v_fmamk_f32 v3, v8, 0xbf5db3d7, v33
	v_dual_fmac_f32 v33, 0x3f5db3d7, v8 :: v_dual_add_f32 v8, v28, v7
	v_fma_f32 v28, -0.5, v24, v28
	v_add_f32_e32 v24, v47, v11
	ds_store_2addr_b64 v38, v[0:1], v[2:3] offset1:150
	ds_store_b64 v38, v[32:33] offset:2400
	v_dual_add_f32 v0, v31, v6 :: v_dual_fmac_f32 v57, v25, v56
	v_fmamk_f32 v2, v30, 0x3f5db3d7, v28
	v_dual_fmac_f32 v28, 0xbf5db3d7, v30 :: v_dual_sub_f32 v43, v51, v53
	v_add_f32_e32 v25, v29, v9
	v_add_f32_e32 v9, v9, v42
	v_dual_sub_f32 v7, v7, v10 :: v_dual_sub_f32 v52, v5, v11
	s_delay_alu instid0(VALU_DEP_4) | instskip(SKIP_4) | instid1(VALU_DEP_4)
	v_fmamk_f32 v6, v43, 0x3f5db3d7, v26
	v_dual_fmac_f32 v26, 0xbf5db3d7, v43 :: v_dual_sub_f32 v49, v55, v57
	v_add_f32_e32 v45, v51, v53
	v_dual_fmac_f32 v29, -0.5, v9 :: v_dual_add_f32 v4, v8, v10
	v_add_f32_e32 v5, v25, v42
	v_fmamk_f32 v30, v49, 0x3f5db3d7, v22
	v_fmac_f32_e32 v22, 0xbf5db3d7, v49
	v_add_f32_e32 v51, v55, v57
	v_fmac_f32_e32 v27, -0.5, v45
	v_add_f32_e32 v25, v50, v57
	v_fmamk_f32 v3, v7, 0xbf5db3d7, v29
	v_fmac_f32_e32 v29, 0x3f5db3d7, v7
	v_fmac_f32_e32 v23, -0.5, v51
	v_add_f32_e32 v1, v44, v53
	v_fmamk_f32 v7, v46, 0xbf5db3d7, v27
	v_fmac_f32_e32 v27, 0x3f5db3d7, v46
	ds_store_2addr_b64 v36, v[4:5], v[2:3] offset1:150
	ds_store_b64 v36, v[28:29] offset:2400
	ds_store_2addr_b64 v19, v[0:1], v[6:7] offset1:150
	ds_store_b64 v19, v[26:27] offset:2400
	v_fmamk_f32 v31, v52, 0xbf5db3d7, v23
	v_fmac_f32_e32 v23, 0x3f5db3d7, v52
	s_and_saveexec_b32 s1, s0
	s_cbranch_execz .LBB0_21
; %bb.20:
	v_lshl_add_u32 v0, v15, 3, 0
	s_delay_alu instid0(VALU_DEP_1)
	v_add_nc_u32_e32 v1, 0x1c00, v0
	ds_store_2addr_b64 v1, v[24:25], v[30:31] offset0:4 offset1:154
	ds_store_b64 v0, v[22:23] offset:9600
.LBB0_21:
	s_wait_alu 0xfffe
	s_or_b32 exec_lo, exec_lo, s1
	v_add_nc_u32_e32 v0, 0xc00, v38
	v_add_nc_u32_e32 v1, 0x1600, v38
	;; [unrolled: 1-line block ×3, first 2 shown]
	global_wb scope:SCOPE_SE
	s_wait_dscnt 0x0
	s_barrier_signal -1
	s_barrier_wait -1
	global_inv scope:SCOPE_SE
	ds_load_b64 v[36:37], v38
	ds_load_2addr_b64 v[8:11], v0 offset0:66 offset1:201
	ds_load_2addr_b64 v[4:7], v1 offset0:16 offset1:196
	;; [unrolled: 1-line block ×3, first 2 shown]
	ds_load_b64 v[28:29], v41
	ds_load_b64 v[26:27], v40
	s_and_saveexec_b32 s1, s0
	s_cbranch_execz .LBB0_23
; %bb.22:
	ds_load_b64 v[30:31], v38 offset:6840
	ds_load_b64 v[24:25], v39
	ds_load_b64 v[22:23], v38 offset:10440
.LBB0_23:
	s_wait_alu 0xfffe
	s_or_b32 exec_lo, exec_lo, s1
	global_load_b128 v[42:45], v[34:35], off offset:3560
	v_dual_mov_b32 v33, 0 :: v_dual_lshlrev_b32 v32, 1, v18
	s_delay_alu instid0(VALU_DEP_1) | instskip(SKIP_1) | instid1(VALU_DEP_2)
	v_lshlrev_b64_e32 v[34:35], 3, v[32:33]
	v_lshlrev_b32_e32 v32, 1, v21
	v_add_co_u32 v34, s1, s8, v34
	s_wait_alu 0xf1ff
	s_delay_alu instid0(VALU_DEP_3)
	v_add_co_ci_u32_e64 v35, s1, s9, v35, s1
	global_load_b128 v[46:49], v[34:35], off offset:3560
	s_wait_loadcnt_dscnt 0x104
	v_mul_f32_e32 v19, v43, v8
	v_lshlrev_b64_e32 v[50:51], 3, v[32:33]
	s_wait_dscnt 0x3
	v_dual_mul_f32 v15, v43, v9 :: v_dual_mul_f32 v32, v45, v7
	s_delay_alu instid0(VALU_DEP_3) | instskip(NEXT) | instid1(VALU_DEP_3)
	v_fmac_f32_e32 v19, v42, v9
	v_add_co_u32 v34, s1, s8, v50
	s_wait_alu 0xf1ff
	v_add_co_ci_u32_e64 v35, s1, s9, v51, s1
	v_fma_f32 v8, v42, v8, -v15
	global_load_b128 v[50:53], v[34:35], off offset:3560
	v_mul_f32_e32 v34, v45, v6
	v_fma_f32 v6, v44, v6, -v32
	global_wb scope:SCOPE_SE
	s_wait_loadcnt_dscnt 0x0
	v_add_f32_e32 v32, v37, v19
	s_barrier_signal -1
	s_barrier_wait -1
	v_add_f32_e32 v9, v8, v6
	v_sub_f32_e32 v35, v8, v6
	v_fmac_f32_e32 v34, v44, v7
	v_add_f32_e32 v7, v36, v8
	v_mul_f32_e32 v42, v49, v0
	v_fma_f32 v36, -0.5, v9, v36
	global_inv scope:SCOPE_SE
	v_sub_f32_e32 v15, v19, v34
	v_dual_add_f32 v19, v19, v34 :: v_dual_fmac_f32 v42, v48, v1
	s_delay_alu instid0(VALU_DEP_2) | instskip(SKIP_1) | instid1(VALU_DEP_3)
	v_fmamk_f32 v8, v15, 0x3f5db3d7, v36
	v_fmac_f32_e32 v36, 0xbf5db3d7, v15
	v_dual_add_f32 v6, v7, v6 :: v_dual_fmac_f32 v37, -0.5, v19
	v_mul_f32_e32 v19, v47, v11
	s_delay_alu instid0(VALU_DEP_2) | instskip(SKIP_4) | instid1(VALU_DEP_3)
	v_fmamk_f32 v9, v35, 0xbf5db3d7, v37
	v_add_f32_e32 v7, v32, v34
	v_dual_mul_f32 v32, v47, v10 :: v_dual_fmac_f32 v37, 0x3f5db3d7, v35
	v_mul_f32_e32 v34, v49, v1
	v_fma_f32 v10, v46, v10, -v19
	v_fmac_f32_e32 v32, v46, v11
	ds_store_b64 v38, v[6:7]
	ds_store_b64 v38, v[8:9] offset:3600
	ds_store_b64 v38, v[36:37] offset:7200
	v_fma_f32 v0, v48, v0, -v34
	v_add_f32_e32 v6, v29, v32
	s_delay_alu instid0(VALU_DEP_2) | instskip(SKIP_2) | instid1(VALU_DEP_3)
	v_dual_sub_f32 v8, v10, v0 :: v_dual_mul_f32 v19, v53, v2
	v_mul_f32_e32 v15, v53, v3
	v_mul_f32_e32 v1, v51, v5
	v_fmac_f32_e32 v19, v52, v3
	v_sub_f32_e32 v3, v32, v42
	v_mul_f32_e32 v11, v51, v4
	s_delay_alu instid0(VALU_DEP_1) | instskip(SKIP_3) | instid1(VALU_DEP_4)
	v_fmac_f32_e32 v11, v50, v5
	v_fma_f32 v5, v52, v2, -v15
	v_add_f32_e32 v2, v10, v0
	v_fma_f32 v4, v50, v4, -v1
	v_dual_add_f32 v1, v28, v10 :: v_dual_add_f32 v10, v27, v11
	s_delay_alu instid0(VALU_DEP_3) | instskip(NEXT) | instid1(VALU_DEP_2)
	v_fma_f32 v28, -0.5, v2, v28
	v_dual_add_f32 v7, v32, v42 :: v_dual_add_f32 v0, v1, v0
	v_sub_f32_e32 v9, v11, v19
	v_add_f32_e32 v11, v11, v19
	v_add_f32_e32 v1, v6, v42
	s_delay_alu instid0(VALU_DEP_4) | instskip(SKIP_3) | instid1(VALU_DEP_3)
	v_fmac_f32_e32 v29, -0.5, v7
	v_dual_add_f32 v7, v4, v5 :: v_dual_add_f32 v6, v26, v4
	v_sub_f32_e32 v15, v4, v5
	v_fmac_f32_e32 v27, -0.5, v11
	v_fma_f32 v26, -0.5, v7, v26
	s_delay_alu instid0(VALU_DEP_4) | instskip(SKIP_2) | instid1(VALU_DEP_4)
	v_add_f32_e32 v4, v6, v5
	v_fmamk_f32 v2, v3, 0x3f5db3d7, v28
	v_fmac_f32_e32 v28, 0xbf5db3d7, v3
	v_dual_add_f32 v5, v10, v19 :: v_dual_fmamk_f32 v6, v9, 0x3f5db3d7, v26
	v_dual_fmac_f32 v26, 0xbf5db3d7, v9 :: v_dual_fmamk_f32 v3, v8, 0xbf5db3d7, v29
	v_fmac_f32_e32 v29, 0x3f5db3d7, v8
	v_fmamk_f32 v7, v15, 0xbf5db3d7, v27
	v_fmac_f32_e32 v27, 0x3f5db3d7, v15
	ds_store_b64 v41, v[0:1]
	ds_store_b64 v41, v[2:3] offset:3600
	ds_store_b64 v41, v[28:29] offset:7200
	ds_store_b64 v40, v[4:5]
	ds_store_b64 v40, v[6:7] offset:3600
	ds_store_b64 v40, v[26:27] offset:7200
	s_and_saveexec_b32 s1, s0
	s_cbranch_execz .LBB0_25
; %bb.24:
	v_subrev_nc_u32_e32 v0, 45, v14
	s_delay_alu instid0(VALU_DEP_1) | instskip(NEXT) | instid1(VALU_DEP_1)
	v_cndmask_b32_e64 v0, v0, v20, s0
	v_lshlrev_b32_e32 v32, 1, v0
	s_delay_alu instid0(VALU_DEP_1) | instskip(NEXT) | instid1(VALU_DEP_1)
	v_lshlrev_b64_e32 v[0:1], 3, v[32:33]
	v_add_co_u32 v0, s0, s8, v0
	s_wait_alu 0xf1ff
	s_delay_alu instid0(VALU_DEP_2)
	v_add_co_ci_u32_e64 v1, s0, s9, v1, s0
	global_load_b128 v[0:3], v[0:1], off offset:3560
	s_wait_loadcnt 0x0
	v_mul_f32_e32 v5, v30, v1
	v_mul_f32_e32 v6, v22, v3
	;; [unrolled: 1-line block ×3, first 2 shown]
	s_delay_alu instid0(VALU_DEP_3) | instskip(NEXT) | instid1(VALU_DEP_3)
	v_fmac_f32_e32 v5, v31, v0
	v_fmac_f32_e32 v6, v23, v2
	v_mul_f32_e32 v1, v23, v3
	s_delay_alu instid0(VALU_DEP_4) | instskip(NEXT) | instid1(VALU_DEP_4)
	v_fma_f32 v3, v30, v0, -v4
	v_add_f32_e32 v8, v25, v5
	s_delay_alu instid0(VALU_DEP_4) | instskip(NEXT) | instid1(VALU_DEP_4)
	v_add_f32_e32 v0, v5, v6
	v_fma_f32 v2, v22, v2, -v1
	s_delay_alu instid0(VALU_DEP_4) | instskip(NEXT) | instid1(VALU_DEP_3)
	v_add_f32_e32 v9, v24, v3
	v_fma_f32 v1, -0.5, v0, v25
	s_delay_alu instid0(VALU_DEP_3) | instskip(SKIP_3) | instid1(VALU_DEP_4)
	v_add_f32_e32 v7, v3, v2
	v_sub_f32_e32 v4, v3, v2
	v_sub_f32_e32 v10, v5, v6
	v_add_f32_e32 v2, v9, v2
	v_fma_f32 v0, -0.5, v7, v24
	s_delay_alu instid0(VALU_DEP_4) | instskip(SKIP_1) | instid1(VALU_DEP_3)
	v_fmamk_f32 v5, v4, 0x3f5db3d7, v1
	v_fmac_f32_e32 v1, 0xbf5db3d7, v4
	v_dual_add_f32 v3, v8, v6 :: v_dual_fmamk_f32 v4, v10, 0xbf5db3d7, v0
	v_fmac_f32_e32 v0, 0x3f5db3d7, v10
	ds_store_b64 v38, v[2:3] offset:3240
	ds_store_b64 v38, v[0:1] offset:6840
	;; [unrolled: 1-line block ×3, first 2 shown]
.LBB0_25:
	s_wait_alu 0xfffe
	s_or_b32 exec_lo, exec_lo, s1
	global_wb scope:SCOPE_SE
	s_wait_dscnt 0x0
	s_barrier_signal -1
	s_barrier_wait -1
	global_inv scope:SCOPE_SE
	ds_load_b64 v[4:5], v38
	v_lshlrev_b32_e32 v0, 3, v14
	s_mov_b32 s1, exec_lo
                                        ; implicit-def: $vgpr7
                                        ; implicit-def: $vgpr8
                                        ; implicit-def: $vgpr2_vgpr3
	s_delay_alu instid0(VALU_DEP_1)
	v_sub_nc_u32_e32 v6, 0, v0
                                        ; implicit-def: $vgpr0
	v_cmpx_ne_u32_e32 0, v14
	s_wait_alu 0xfffe
	s_xor_b32 s1, exec_lo, s1
	s_cbranch_execz .LBB0_27
; %bb.26:
	ds_load_b64 v[2:3], v6 offset:10800
	s_wait_dscnt 0x0
	v_dual_mov_b32 v15, 0 :: v_dual_add_f32 v8, v3, v5
	s_delay_alu instid0(VALU_DEP_1) | instskip(SKIP_2) | instid1(VALU_DEP_2)
	v_lshlrev_b64_e32 v[0:1], 3, v[14:15]
	v_dual_sub_f32 v7, v4, v2 :: v_dual_add_f32 v2, v2, v4
	v_sub_f32_e32 v3, v5, v3
	v_mul_f32_e32 v5, 0.5, v7
	s_delay_alu instid0(VALU_DEP_4)
	v_add_co_u32 v0, s0, s8, v0
	s_wait_alu 0xf1ff
	v_add_co_ci_u32_e64 v1, s0, s9, v1, s0
	v_mul_f32_e32 v3, 0.5, v3
	global_load_b64 v[0:1], v[0:1], off offset:10760
	s_wait_loadcnt 0x0
	v_dual_mul_f32 v9, 0.5, v8 :: v_dual_mul_f32 v4, v1, v5
	s_delay_alu instid0(VALU_DEP_1) | instskip(SKIP_1) | instid1(VALU_DEP_3)
	v_fma_f32 v8, v9, v1, v3
	v_fma_f32 v1, v9, v1, -v3
	v_fma_f32 v7, 0.5, v2, v4
	v_fma_f32 v2, v2, 0.5, -v4
	s_delay_alu instid0(VALU_DEP_4) | instskip(NEXT) | instid1(VALU_DEP_4)
	v_fma_f32 v8, -v0, v5, v8
	v_fma_f32 v1, -v0, v5, v1
                                        ; implicit-def: $vgpr4_vgpr5
	s_delay_alu instid0(VALU_DEP_4) | instskip(NEXT) | instid1(VALU_DEP_4)
	v_fmac_f32_e32 v7, v0, v9
	v_fma_f32 v0, -v0, v9, v2
	v_dual_mov_b32 v2, v14 :: v_dual_mov_b32 v3, v15
.LBB0_27:
	s_wait_alu 0xfffe
	s_and_not1_saveexec_b32 s0, s1
	s_cbranch_execz .LBB0_29
; %bb.28:
	s_wait_dscnt 0x0
	v_dual_mov_b32 v8, 0 :: v_dual_add_f32 v7, v4, v5
	v_mov_b32_e32 v2, 0
	v_dual_sub_f32 v0, v4, v5 :: v_dual_mov_b32 v3, 0
	ds_load_b32 v1, v8 offset:5404
	s_wait_dscnt 0x0
	v_xor_b32_e32 v4, 0x80000000, v1
	v_mov_b32_e32 v1, 0
	ds_store_b32 v8, v4 offset:5404
.LBB0_29:
	s_wait_alu 0xfffe
	s_or_b32 exec_lo, exec_lo, s0
	v_mov_b32_e32 v19, 0
	v_lshlrev_b64_e32 v[2:3], 3, v[2:3]
	s_wait_dscnt 0x0
	s_delay_alu instid0(VALU_DEP_2) | instskip(SKIP_1) | instid1(VALU_DEP_1)
	v_lshlrev_b64_e32 v[4:5], 3, v[18:19]
	v_mov_b32_e32 v22, v19
	v_lshlrev_b64_e32 v[9:10], 3, v[21:22]
	v_mov_b32_e32 v21, v19
	s_delay_alu instid0(VALU_DEP_4) | instskip(SKIP_2) | instid1(VALU_DEP_4)
	v_add_co_u32 v4, s0, s8, v4
	s_wait_alu 0xf1ff
	v_add_co_ci_u32_e64 v5, s0, s9, v5, s0
	v_add_co_u32 v9, s0, s8, v9
	s_wait_alu 0xf1ff
	v_add_co_ci_u32_e64 v10, s0, s9, v10, s0
	global_load_b64 v[4:5], v[4:5], off offset:10760
	v_lshlrev_b64_e32 v[20:21], 3, v[20:21]
	global_load_b64 v[9:10], v[9:10], off offset:10760
	v_add_co_u32 v20, s0, s8, v20
	s_wait_alu 0xf1ff
	v_add_co_ci_u32_e64 v21, s0, s9, v21, s0
	s_add_nc_u64 s[0:1], s[8:9], 0x2a08
	s_wait_alu 0xfffe
	v_add_co_u32 v2, s0, s0, v2
	global_load_b64 v[20:21], v[20:21], off offset:10760
	s_wait_alu 0xf1ff
	v_add_co_ci_u32_e64 v3, s0, s1, v3, s0
	global_load_b64 v[2:3], v[2:3], off offset:4320
	ds_store_2addr_b32 v38, v7, v8 offset1:1
	ds_store_b64 v6, v[0:1] offset:10800
	ds_load_b64 v[0:1], v41
	ds_load_b64 v[7:8], v6 offset:9720
	s_wait_dscnt 0x0
	v_sub_f32_e32 v11, v0, v7
	v_dual_add_f32 v15, v1, v8 :: v_dual_add_f32 v0, v0, v7
	s_delay_alu instid0(VALU_DEP_2) | instskip(NEXT) | instid1(VALU_DEP_2)
	v_dual_sub_f32 v1, v1, v8 :: v_dual_mul_f32 v8, 0.5, v11
	v_mul_f32_e32 v11, 0.5, v15
	s_delay_alu instid0(VALU_DEP_2) | instskip(SKIP_1) | instid1(VALU_DEP_3)
	v_mul_f32_e32 v1, 0.5, v1
	s_wait_loadcnt 0x3
	v_mul_f32_e32 v7, v5, v8
	s_delay_alu instid0(VALU_DEP_2) | instskip(SKIP_1) | instid1(VALU_DEP_3)
	v_fma_f32 v15, v11, v5, v1
	v_fma_f32 v1, v11, v5, -v1
	v_fma_f32 v5, 0.5, v0, v7
	v_fma_f32 v0, v0, 0.5, -v7
	s_delay_alu instid0(VALU_DEP_4) | instskip(NEXT) | instid1(VALU_DEP_4)
	v_fma_f32 v7, -v4, v8, v15
	v_fma_f32 v1, -v4, v8, v1
	s_delay_alu instid0(VALU_DEP_4) | instskip(NEXT) | instid1(VALU_DEP_4)
	v_fmac_f32_e32 v5, v4, v11
	v_fma_f32 v0, -v4, v11, v0
	ds_store_b32 v41, v7 offset:4
	ds_store_b32 v6, v1 offset:9724
	ds_store_b32 v41, v5
	ds_store_b32 v6, v0 offset:9720
	ds_load_b64 v[0:1], v40
	ds_load_b64 v[4:5], v6 offset:8640
	s_wait_dscnt 0x0
	v_dual_sub_f32 v7, v0, v4 :: v_dual_add_f32 v8, v1, v5
	v_dual_sub_f32 v1, v1, v5 :: v_dual_add_f32 v0, v0, v4
	s_delay_alu instid0(VALU_DEP_2) | instskip(NEXT) | instid1(VALU_DEP_3)
	v_mul_f32_e32 v5, 0.5, v7
	v_mul_f32_e32 v7, 0.5, v8
	s_delay_alu instid0(VALU_DEP_3) | instskip(SKIP_1) | instid1(VALU_DEP_3)
	v_mul_f32_e32 v1, 0.5, v1
	s_wait_loadcnt 0x2
	v_mul_f32_e32 v4, v10, v5
	s_delay_alu instid0(VALU_DEP_2) | instskip(SKIP_1) | instid1(VALU_DEP_3)
	v_fma_f32 v8, v7, v10, v1
	v_fma_f32 v1, v7, v10, -v1
	v_fma_f32 v10, 0.5, v0, v4
	v_fma_f32 v0, v0, 0.5, -v4
	s_delay_alu instid0(VALU_DEP_4) | instskip(NEXT) | instid1(VALU_DEP_4)
	v_fma_f32 v4, -v9, v5, v8
	v_fma_f32 v1, -v9, v5, v1
	s_delay_alu instid0(VALU_DEP_4) | instskip(NEXT) | instid1(VALU_DEP_4)
	v_fmac_f32_e32 v10, v9, v7
	v_fma_f32 v0, -v9, v7, v0
	ds_store_2addr_b32 v40, v10, v4 offset1:1
	ds_store_b64 v6, v[0:1] offset:8640
	ds_load_b64 v[0:1], v39
	ds_load_b64 v[4:5], v6 offset:7560
	s_wait_dscnt 0x0
	v_dual_sub_f32 v7, v0, v4 :: v_dual_add_f32 v8, v1, v5
	v_dual_sub_f32 v1, v1, v5 :: v_dual_add_f32 v0, v0, v4
	s_delay_alu instid0(VALU_DEP_2) | instskip(NEXT) | instid1(VALU_DEP_3)
	v_mul_f32_e32 v5, 0.5, v7
	v_mul_f32_e32 v7, 0.5, v8
	s_delay_alu instid0(VALU_DEP_3) | instskip(SKIP_1) | instid1(VALU_DEP_3)
	v_mul_f32_e32 v1, 0.5, v1
	s_wait_loadcnt 0x1
	v_mul_f32_e32 v4, v21, v5
	s_delay_alu instid0(VALU_DEP_2) | instskip(SKIP_1) | instid1(VALU_DEP_3)
	v_fma_f32 v8, v7, v21, v1
	v_fma_f32 v1, v7, v21, -v1
	v_fma_f32 v9, 0.5, v0, v4
	v_fma_f32 v0, v0, 0.5, -v4
	s_delay_alu instid0(VALU_DEP_4) | instskip(NEXT) | instid1(VALU_DEP_4)
	v_fma_f32 v4, -v20, v5, v8
	v_fma_f32 v1, -v20, v5, v1
	s_delay_alu instid0(VALU_DEP_4) | instskip(NEXT) | instid1(VALU_DEP_4)
	v_fmac_f32_e32 v9, v20, v7
	v_fma_f32 v0, -v20, v7, v0
	ds_store_2addr_b32 v39, v9, v4 offset1:1
	ds_store_b64 v6, v[0:1] offset:7560
	ds_load_b64 v[0:1], v38 offset:4320
	ds_load_b64 v[4:5], v6 offset:6480
	s_wait_dscnt 0x0
	v_dual_add_f32 v8, v1, v5 :: v_dual_sub_f32 v7, v0, v4
	v_dual_sub_f32 v1, v1, v5 :: v_dual_add_f32 v0, v0, v4
	s_delay_alu instid0(VALU_DEP_2) | instskip(NEXT) | instid1(VALU_DEP_3)
	v_mul_f32_e32 v5, 0.5, v7
	v_mul_f32_e32 v7, 0.5, v8
	s_delay_alu instid0(VALU_DEP_3) | instskip(SKIP_1) | instid1(VALU_DEP_3)
	v_mul_f32_e32 v1, 0.5, v1
	s_wait_loadcnt 0x0
	v_mul_f32_e32 v4, v3, v5
	s_delay_alu instid0(VALU_DEP_2) | instskip(SKIP_1) | instid1(VALU_DEP_3)
	v_fma_f32 v8, v7, v3, v1
	v_fma_f32 v1, v7, v3, -v1
	v_fma_f32 v3, 0.5, v0, v4
	v_fma_f32 v0, v0, 0.5, -v4
	v_add_nc_u32_e32 v4, 0x1000, v38
	v_fma_f32 v8, -v2, v5, v8
	v_fma_f32 v1, -v2, v5, v1
	v_fmac_f32_e32 v3, v2, v7
	v_fma_f32 v0, -v2, v7, v0
	ds_store_2addr_b32 v4, v3, v8 offset0:56 offset1:57
	ds_store_b64 v6, v[0:1] offset:6480
	global_wb scope:SCOPE_SE
	s_wait_dscnt 0x0
	s_barrier_signal -1
	s_barrier_wait -1
	global_inv scope:SCOPE_SE
	s_and_saveexec_b32 s0, vcc_lo
	s_cbranch_execz .LBB0_32
; %bb.30:
	v_mul_lo_u32 v2, s3, v16
	v_mul_lo_u32 v3, s2, v17
	v_mad_co_u64_u32 v[0:1], null, s2, v16, 0
	v_lshl_add_u32 v17, v14, 3, 0
	v_dual_mov_b32 v15, v19 :: v_dual_add_nc_u32 v18, 0x87, v14
	v_lshlrev_b64_e32 v[10:11], 3, v[12:13]
	s_delay_alu instid0(VALU_DEP_3) | instskip(SKIP_1) | instid1(VALU_DEP_4)
	v_add_nc_u32_e32 v6, 0x800, v17
	v_add3_u32 v1, v1, v3, v2
	v_lshlrev_b64_e32 v[12:13], 3, v[14:15]
	ds_load_2addr_b64 v[2:5], v17 offset1:135
	v_lshlrev_b64_e32 v[15:16], 3, v[18:19]
	v_add_nc_u32_e32 v18, 0x10e, v14
	v_lshlrev_b64_e32 v[0:1], 3, v[0:1]
	ds_load_2addr_b64 v[6:9], v6 offset0:14 offset1:149
	v_add_nc_u32_e32 v24, 0x1000, v17
	v_lshlrev_b64_e32 v[20:21], 3, v[18:19]
	v_add_nc_u32_e32 v18, 0x195, v14
	v_add_co_u32 v0, vcc_lo, s6, v0
	s_wait_alu 0xfffd
	v_add_co_ci_u32_e32 v1, vcc_lo, s7, v1, vcc_lo
	s_delay_alu instid0(VALU_DEP_2) | instskip(SKIP_1) | instid1(VALU_DEP_2)
	v_add_co_u32 v0, vcc_lo, v0, v10
	s_wait_alu 0xfffd
	v_add_co_ci_u32_e32 v1, vcc_lo, v1, v11, vcc_lo
	s_delay_alu instid0(VALU_DEP_2) | instskip(SKIP_1) | instid1(VALU_DEP_2)
	v_add_co_u32 v10, vcc_lo, v0, v12
	s_wait_alu 0xfffd
	v_add_co_ci_u32_e32 v11, vcc_lo, v1, v13, vcc_lo
	v_add_co_u32 v12, vcc_lo, v0, v15
	s_wait_alu 0xfffd
	v_add_co_ci_u32_e32 v13, vcc_lo, v1, v16, vcc_lo
	v_lshlrev_b64_e32 v[15:16], 3, v[18:19]
	v_add_nc_u32_e32 v18, 0x21c, v14
	v_add_co_u32 v20, vcc_lo, v0, v20
	s_wait_alu 0xfffd
	v_add_co_ci_u32_e32 v21, vcc_lo, v1, v21, vcc_lo
	s_delay_alu instid0(VALU_DEP_3)
	v_lshlrev_b64_e32 v[22:23], 3, v[18:19]
	v_add_nc_u32_e32 v18, 0x2a3, v14
	v_add_co_u32 v15, vcc_lo, v0, v15
	s_wait_alu 0xfffd
	v_add_co_ci_u32_e32 v16, vcc_lo, v1, v16, vcc_lo
	s_wait_dscnt 0x1
	s_clause 0x1
	global_store_b64 v[10:11], v[2:3], off
	global_store_b64 v[12:13], v[4:5], off
	s_wait_dscnt 0x0
	s_clause 0x1
	global_store_b64 v[20:21], v[6:7], off
	global_store_b64 v[15:16], v[8:9], off
	v_lshlrev_b64_e32 v[6:7], 3, v[18:19]
	v_add_nc_u32_e32 v18, 0x32a, v14
	v_add_co_u32 v15, vcc_lo, v0, v22
	s_wait_alu 0xfffd
	v_add_co_ci_u32_e32 v16, vcc_lo, v1, v23, vcc_lo
	s_delay_alu instid0(VALU_DEP_3) | instskip(SKIP_4) | instid1(VALU_DEP_4)
	v_lshlrev_b64_e32 v[10:11], 3, v[18:19]
	v_add_nc_u32_e32 v18, 0x3b1, v14
	v_add_nc_u32_e32 v8, 0x1800, v17
	v_add_co_u32 v20, vcc_lo, v0, v6
	v_add_nc_u32_e32 v12, 0x2000, v17
	v_lshlrev_b64_e32 v[22:23], 3, v[18:19]
	v_add_nc_u32_e32 v18, 0x438, v14
	ds_load_2addr_b64 v[2:5], v24 offset0:28 offset1:163
	s_wait_alu 0xfffd
	v_add_co_ci_u32_e32 v21, vcc_lo, v1, v7, vcc_lo
	ds_load_2addr_b64 v[6:9], v8 offset0:42 offset1:177
	v_lshlrev_b64_e32 v[26:27], 3, v[18:19]
	v_add_nc_u32_e32 v18, 0x4bf, v14
	v_add_co_u32 v24, vcc_lo, v0, v10
	s_wait_alu 0xfffd
	v_add_co_ci_u32_e32 v25, vcc_lo, v1, v11, vcc_lo
	ds_load_2addr_b64 v[10:13], v12 offset0:56 offset1:191
	v_add_co_u32 v22, vcc_lo, v0, v22
	v_lshlrev_b64_e32 v[17:18], 3, v[18:19]
	s_wait_alu 0xfffd
	v_add_co_ci_u32_e32 v23, vcc_lo, v1, v23, vcc_lo
	v_add_co_u32 v26, vcc_lo, v0, v26
	s_wait_alu 0xfffd
	v_add_co_ci_u32_e32 v27, vcc_lo, v1, v27, vcc_lo
	v_add_co_u32 v17, vcc_lo, v0, v17
	s_wait_alu 0xfffd
	v_add_co_ci_u32_e32 v18, vcc_lo, v1, v18, vcc_lo
	v_cmp_eq_u32_e32 vcc_lo, 0x86, v14
	s_wait_dscnt 0x2
	s_clause 0x1
	global_store_b64 v[15:16], v[2:3], off
	global_store_b64 v[20:21], v[4:5], off
	s_wait_dscnt 0x1
	s_clause 0x1
	global_store_b64 v[24:25], v[6:7], off
	global_store_b64 v[22:23], v[8:9], off
	;; [unrolled: 4-line block ×3, first 2 shown]
	s_and_b32 exec_lo, exec_lo, vcc_lo
	s_cbranch_execz .LBB0_32
; %bb.31:
	v_mov_b32_e32 v2, 0
	ds_load_b64 v[2:3], v2 offset:10800
	s_wait_dscnt 0x0
	global_store_b64 v[0:1], v[2:3], off offset:10800
.LBB0_32:
	s_nop 0
	s_sendmsg sendmsg(MSG_DEALLOC_VGPRS)
	s_endpgm
	.section	.rodata,"a",@progbits
	.p2align	6, 0x0
	.amdhsa_kernel fft_rtc_fwd_len1350_factors_5_10_3_3_3_wgs_135_tpt_135_halfLds_sp_op_CI_CI_unitstride_sbrr_R2C_dirReg
		.amdhsa_group_segment_fixed_size 0
		.amdhsa_private_segment_fixed_size 0
		.amdhsa_kernarg_size 104
		.amdhsa_user_sgpr_count 2
		.amdhsa_user_sgpr_dispatch_ptr 0
		.amdhsa_user_sgpr_queue_ptr 0
		.amdhsa_user_sgpr_kernarg_segment_ptr 1
		.amdhsa_user_sgpr_dispatch_id 0
		.amdhsa_user_sgpr_private_segment_size 0
		.amdhsa_wavefront_size32 1
		.amdhsa_uses_dynamic_stack 0
		.amdhsa_enable_private_segment 0
		.amdhsa_system_sgpr_workgroup_id_x 1
		.amdhsa_system_sgpr_workgroup_id_y 0
		.amdhsa_system_sgpr_workgroup_id_z 0
		.amdhsa_system_sgpr_workgroup_info 0
		.amdhsa_system_vgpr_workitem_id 0
		.amdhsa_next_free_vgpr 72
		.amdhsa_next_free_sgpr 39
		.amdhsa_reserve_vcc 1
		.amdhsa_float_round_mode_32 0
		.amdhsa_float_round_mode_16_64 0
		.amdhsa_float_denorm_mode_32 3
		.amdhsa_float_denorm_mode_16_64 3
		.amdhsa_fp16_overflow 0
		.amdhsa_workgroup_processor_mode 1
		.amdhsa_memory_ordered 1
		.amdhsa_forward_progress 0
		.amdhsa_round_robin_scheduling 0
		.amdhsa_exception_fp_ieee_invalid_op 0
		.amdhsa_exception_fp_denorm_src 0
		.amdhsa_exception_fp_ieee_div_zero 0
		.amdhsa_exception_fp_ieee_overflow 0
		.amdhsa_exception_fp_ieee_underflow 0
		.amdhsa_exception_fp_ieee_inexact 0
		.amdhsa_exception_int_div_zero 0
	.end_amdhsa_kernel
	.text
.Lfunc_end0:
	.size	fft_rtc_fwd_len1350_factors_5_10_3_3_3_wgs_135_tpt_135_halfLds_sp_op_CI_CI_unitstride_sbrr_R2C_dirReg, .Lfunc_end0-fft_rtc_fwd_len1350_factors_5_10_3_3_3_wgs_135_tpt_135_halfLds_sp_op_CI_CI_unitstride_sbrr_R2C_dirReg
                                        ; -- End function
	.section	.AMDGPU.csdata,"",@progbits
; Kernel info:
; codeLenInByte = 9264
; NumSgprs: 41
; NumVgprs: 72
; ScratchSize: 0
; MemoryBound: 0
; FloatMode: 240
; IeeeMode: 1
; LDSByteSize: 0 bytes/workgroup (compile time only)
; SGPRBlocks: 5
; VGPRBlocks: 8
; NumSGPRsForWavesPerEU: 41
; NumVGPRsForWavesPerEU: 72
; Occupancy: 15
; WaveLimiterHint : 1
; COMPUTE_PGM_RSRC2:SCRATCH_EN: 0
; COMPUTE_PGM_RSRC2:USER_SGPR: 2
; COMPUTE_PGM_RSRC2:TRAP_HANDLER: 0
; COMPUTE_PGM_RSRC2:TGID_X_EN: 1
; COMPUTE_PGM_RSRC2:TGID_Y_EN: 0
; COMPUTE_PGM_RSRC2:TGID_Z_EN: 0
; COMPUTE_PGM_RSRC2:TIDIG_COMP_CNT: 0
	.text
	.p2alignl 7, 3214868480
	.fill 96, 4, 3214868480
	.type	__hip_cuid_ba1a72e98838d044,@object ; @__hip_cuid_ba1a72e98838d044
	.section	.bss,"aw",@nobits
	.globl	__hip_cuid_ba1a72e98838d044
__hip_cuid_ba1a72e98838d044:
	.byte	0                               ; 0x0
	.size	__hip_cuid_ba1a72e98838d044, 1

	.ident	"AMD clang version 19.0.0git (https://github.com/RadeonOpenCompute/llvm-project roc-6.4.0 25133 c7fe45cf4b819c5991fe208aaa96edf142730f1d)"
	.section	".note.GNU-stack","",@progbits
	.addrsig
	.addrsig_sym __hip_cuid_ba1a72e98838d044
	.amdgpu_metadata
---
amdhsa.kernels:
  - .args:
      - .actual_access:  read_only
        .address_space:  global
        .offset:         0
        .size:           8
        .value_kind:     global_buffer
      - .offset:         8
        .size:           8
        .value_kind:     by_value
      - .actual_access:  read_only
        .address_space:  global
        .offset:         16
        .size:           8
        .value_kind:     global_buffer
      - .actual_access:  read_only
        .address_space:  global
        .offset:         24
        .size:           8
        .value_kind:     global_buffer
      - .actual_access:  read_only
        .address_space:  global
        .offset:         32
        .size:           8
        .value_kind:     global_buffer
      - .offset:         40
        .size:           8
        .value_kind:     by_value
      - .actual_access:  read_only
        .address_space:  global
        .offset:         48
        .size:           8
        .value_kind:     global_buffer
      - .actual_access:  read_only
        .address_space:  global
        .offset:         56
        .size:           8
        .value_kind:     global_buffer
      - .offset:         64
        .size:           4
        .value_kind:     by_value
      - .actual_access:  read_only
        .address_space:  global
        .offset:         72
        .size:           8
        .value_kind:     global_buffer
      - .actual_access:  read_only
        .address_space:  global
        .offset:         80
        .size:           8
        .value_kind:     global_buffer
      - .actual_access:  read_only
        .address_space:  global
        .offset:         88
        .size:           8
        .value_kind:     global_buffer
      - .actual_access:  write_only
        .address_space:  global
        .offset:         96
        .size:           8
        .value_kind:     global_buffer
    .group_segment_fixed_size: 0
    .kernarg_segment_align: 8
    .kernarg_segment_size: 104
    .language:       OpenCL C
    .language_version:
      - 2
      - 0
    .max_flat_workgroup_size: 135
    .name:           fft_rtc_fwd_len1350_factors_5_10_3_3_3_wgs_135_tpt_135_halfLds_sp_op_CI_CI_unitstride_sbrr_R2C_dirReg
    .private_segment_fixed_size: 0
    .sgpr_count:     41
    .sgpr_spill_count: 0
    .symbol:         fft_rtc_fwd_len1350_factors_5_10_3_3_3_wgs_135_tpt_135_halfLds_sp_op_CI_CI_unitstride_sbrr_R2C_dirReg.kd
    .uniform_work_group_size: 1
    .uses_dynamic_stack: false
    .vgpr_count:     72
    .vgpr_spill_count: 0
    .wavefront_size: 32
    .workgroup_processor_mode: 1
amdhsa.target:   amdgcn-amd-amdhsa--gfx1201
amdhsa.version:
  - 1
  - 2
...

	.end_amdgpu_metadata
